;; amdgpu-corpus repo=ROCm/rocFFT kind=compiled arch=gfx1030 opt=O3
	.text
	.amdgcn_target "amdgcn-amd-amdhsa--gfx1030"
	.amdhsa_code_object_version 6
	.protected	bluestein_single_fwd_len220_dim1_dp_op_CI_CI ; -- Begin function bluestein_single_fwd_len220_dim1_dp_op_CI_CI
	.globl	bluestein_single_fwd_len220_dim1_dp_op_CI_CI
	.p2align	8
	.type	bluestein_single_fwd_len220_dim1_dp_op_CI_CI,@function
bluestein_single_fwd_len220_dim1_dp_op_CI_CI: ; @bluestein_single_fwd_len220_dim1_dp_op_CI_CI
; %bb.0:
	s_load_dwordx4 s[12:15], s[4:5], 0x28
	v_mul_u32_u24_e32 v1, 0xba3, v0
	s_mov_b64 s[42:43], s[2:3]
	s_mov_b64 s[40:41], s[0:1]
	s_mov_b32 s0, exec_lo
	s_add_u32 s40, s40, s7
	v_lshrrev_b32_e32 v1, 16, v1
	s_addc_u32 s41, s41, 0
	v_mad_u64_u32 v[144:145], null, s6, 5, v[1:2]
	v_mov_b32_e32 v145, 0
	s_waitcnt lgkmcnt(0)
	v_cmpx_gt_u64_e64 s[12:13], v[144:145]
	s_cbranch_execz .LBB0_10
; %bb.1:
	s_clause 0x1
	s_load_dwordx4 s[8:11], s[4:5], 0x18
	s_load_dwordx4 s[0:3], s[4:5], 0x0
	v_mul_lo_u16 v1, v1, 22
	v_mul_hi_u32 v81, 0xcccccccd, v144
	s_mov_b32 s12, 0x372fe950
	s_mov_b32 s13, 0x3fd3c6ef
	v_mov_b32_e32 v143, 4
	v_sub_nc_u16 v72, v0, v1
	s_load_dwordx2 s[4:5], s[4:5], 0x38
	v_lshrrev_b32_e32 v81, 2, v81
	v_and_b32_e32 v218, 0xffff, v72
	v_add_nc_u16 v155, v72, 22
	v_add_nc_u16 v158, v72, 0x58
	v_add_nc_u16 v156, v72, 44
	v_lshl_add_u32 v81, v81, 2, v81
	v_lshlrev_b32_e32 v121, 4, v218
	v_add_nc_u16 v157, v72, 0x42
	v_and_b32_e32 v162, 0xff, v158
	s_waitcnt lgkmcnt(0)
	s_load_dwordx4 s[16:19], s[8:9], 0x0
	s_clause 0x1
	global_load_dwordx4 v[230:233], v121, s[0:1]
	global_load_dwordx4 v[234:237], v121, s[0:1] offset:352
	v_add_co_u32 v214, s6, s0, v121
	v_add_co_ci_u32_e64 v215, null, s1, 0, s6
	s_clause 0x3
	global_load_dwordx4 v[238:241], v121, s[0:1] offset:704
	global_load_dwordx4 v[242:245], v121, s[0:1] offset:1056
	;; [unrolled: 1-line block ×4, first 2 shown]
	v_sub_nc_u32_e32 v122, v144, v81
	s_mov_b32 s0, 0x134454ff
	s_mov_b32 s1, 0x3fee6f0e
	v_and_b32_e32 v160, 0xff, v156
	v_and_b32_e32 v161, 0xff, v157
	v_mul_u32_u24_e32 v122, 0xdc, v122
	v_lshlrev_b32_e32 v213, 4, v122
	s_waitcnt lgkmcnt(0)
	v_mad_u64_u32 v[8:9], null, s18, v144, 0
	v_mad_u64_u32 v[16:17], null, s16, v218, 0
	s_mul_i32 s6, s17, 0x160
	s_mul_hi_u32 s7, s16, 0x160
	s_mul_i32 s8, s16, 0x160
	s_add_i32 s7, s7, s6
	v_mov_b32_e32 v0, v9
	v_add_nc_u32_e32 v212, v121, v213
	v_mad_u64_u32 v[0:1], null, s19, v144, v[0:1]
	v_mov_b32_e32 v1, v17
	s_mov_b32 s18, 0x9b97f4a8
	s_mov_b32 s19, 0x3fe9e377
	v_mad_u64_u32 v[10:11], null, s17, v218, v[1:2]
	v_mov_b32_e32 v9, v0
	s_mov_b32 s17, 0xbfe2cf23
	v_lshlrev_b64 v[18:19], 4, v[8:9]
	v_mov_b32_e32 v17, v10
	v_lshlrev_b64 v[16:17], 4, v[16:17]
	v_add_co_u32 v18, vcc_lo, s14, v18
	v_add_co_ci_u32_e32 v19, vcc_lo, s15, v19, vcc_lo
	s_mov_b32 s15, 0xbfee6f0e
	v_add_co_u32 v32, vcc_lo, v18, v16
	v_add_co_ci_u32_e32 v33, vcc_lo, v19, v17, vcc_lo
	s_mov_b32 s14, s0
	v_add_co_u32 v34, vcc_lo, v32, s8
	v_add_co_ci_u32_e32 v35, vcc_lo, s7, v33, vcc_lo
	v_add_co_u32 v36, vcc_lo, v34, s8
	v_add_co_ci_u32_e32 v37, vcc_lo, s7, v35, vcc_lo
	v_add_co_u32 v145, vcc_lo, 0x800, v214
	v_add_co_ci_u32_e32 v146, vcc_lo, 0, v215, vcc_lo
	v_add_co_u32 v38, vcc_lo, v36, s8
	v_add_co_ci_u32_e32 v39, vcc_lo, s7, v37, vcc_lo
	s_clause 0x1
	global_load_dwordx4 v[24:27], v[145:146], off offset:64
	global_load_dwordx4 v[28:31], v[145:146], off offset:416
	v_add_co_u32 v56, vcc_lo, v38, s8
	v_add_co_ci_u32_e32 v57, vcc_lo, s7, v39, vcc_lo
	global_load_dwordx4 v[40:43], v[32:33], off
	v_add_co_u32 v32, vcc_lo, v56, s8
	v_add_co_ci_u32_e32 v33, vcc_lo, s7, v57, vcc_lo
	s_clause 0x1
	global_load_dwordx4 v[44:47], v[34:35], off
	global_load_dwordx4 v[48:51], v[36:37], off
	v_add_co_u32 v34, vcc_lo, v32, s8
	v_add_co_ci_u32_e32 v35, vcc_lo, s7, v33, vcc_lo
	s_clause 0x1
	global_load_dwordx4 v[52:55], v[38:39], off
	global_load_dwordx4 v[56:59], v[56:57], off
	v_add_co_u32 v36, vcc_lo, v34, s8
	v_add_co_ci_u32_e32 v37, vcc_lo, s7, v35, vcc_lo
	global_load_dwordx4 v[60:63], v[32:33], off
	v_add_co_u32 v32, vcc_lo, v36, s8
	v_add_co_ci_u32_e32 v33, vcc_lo, s7, v37, vcc_lo
	;; [unrolled: 3-line block ×3, first 2 shown]
	global_load_dwordx4 v[68:71], v[36:37], off
	global_load_dwordx4 v[73:76], v[32:33], off
	s_clause 0x1
	global_load_dwordx4 v[32:35], v[145:146], off offset:768
	global_load_dwordx4 v[36:39], v[145:146], off offset:1120
	global_load_dwordx4 v[77:80], v[77:78], off
	s_load_dwordx4 s[8:11], s[10:11], 0x0
	s_mov_b32 s6, 0x4755a5e
	s_mov_b32 s7, 0x3fe2cf23
	;; [unrolled: 1-line block ×3, first 2 shown]
	v_cmp_gt_u16_e32 vcc_lo, 20, v72
	s_waitcnt vmcnt(11)
	v_mul_f64 v[81:82], v[42:43], v[232:233]
	v_mul_f64 v[83:84], v[40:41], v[232:233]
	s_waitcnt vmcnt(10)
	v_mul_f64 v[85:86], v[46:47], v[236:237]
	v_mul_f64 v[87:88], v[44:45], v[236:237]
	;; [unrolled: 3-line block ×10, first 2 shown]
	v_fma_f64 v[40:41], v[40:41], v[230:231], v[81:82]
	v_fma_f64 v[42:43], v[42:43], v[230:231], -v[83:84]
	v_fma_f64 v[44:45], v[44:45], v[234:235], v[85:86]
	v_fma_f64 v[46:47], v[46:47], v[234:235], -v[87:88]
	;; [unrolled: 2-line block ×6, first 2 shown]
	v_mul_lo_u16 v87, v72, 10
	v_and_b32_e32 v88, 0xff, v72
	v_fma_f64 v[64:65], v[64:65], v[24:25], v[105:106]
	v_fma_f64 v[66:67], v[66:67], v[24:25], -v[107:108]
	v_fma_f64 v[68:69], v[68:69], v[28:29], v[109:110]
	v_fma_f64 v[70:71], v[70:71], v[28:29], -v[111:112]
	;; [unrolled: 2-line block ×4, first 2 shown]
	v_and_b32_e32 v159, 0xffff, v87
	v_mul_lo_u16 v89, 0xcd, v88
	v_and_b32_e32 v90, 0xff, v155
	ds_write_b128 v212, v[40:43]
	ds_write_b128 v212, v[44:47] offset:352
	ds_write_b128 v212, v[48:51] offset:704
	;; [unrolled: 1-line block ×9, first 2 shown]
	s_waitcnt lgkmcnt(0)
	s_barrier
	buffer_gl0_inv
	ds_read_b128 v[52:55], v212 offset:1408
	ds_read_b128 v[60:63], v212 offset:1760
	;; [unrolled: 1-line block ×8, first 2 shown]
	ds_read_b128 v[73:76], v212
	ds_read_b128 v[77:80], v212 offset:352
	v_lshrrev_b16 v163, 11, v89
	v_mul_lo_u16 v164, 0xcd, v90
	v_lshl_add_u32 v217, v159, 4, v213
	s_waitcnt lgkmcnt(0)
	s_barrier
	buffer_gl0_inv
	v_add_f64 v[91:92], v[52:53], v[48:49]
	v_add_f64 v[81:82], v[60:61], v[56:57]
	;; [unrolled: 1-line block ×3, first 2 shown]
	v_add_f64 v[101:102], v[62:63], -v[58:59]
	v_add_f64 v[103:104], v[60:61], -v[56:57]
	v_add_f64 v[83:84], v[70:71], v[46:47]
	v_add_f64 v[85:86], v[68:69], v[44:45]
	v_add_f64 v[99:100], v[70:71], -v[46:47]
	v_add_f64 v[111:112], v[68:69], -v[44:45]
	v_add_f64 v[89:90], v[73:74], v[64:65]
	v_add_f64 v[109:110], v[64:65], v[40:41]
	;; [unrolled: 1-line block ×4, first 2 shown]
	v_add_f64 v[125:126], v[68:69], -v[60:61]
	v_add_f64 v[127:128], v[44:45], -v[56:57]
	;; [unrolled: 1-line block ×8, first 2 shown]
	v_add_f64 v[107:108], v[75:76], v[66:67]
	v_add_f64 v[68:69], v[77:78], v[68:69]
	v_fma_f64 v[81:82], v[81:82], -0.5, v[77:78]
	v_fma_f64 v[87:88], v[87:88], -0.5, v[79:80]
	v_add_f64 v[70:71], v[79:80], v[70:71]
	v_add_f64 v[93:94], v[66:67], -v[42:43]
	v_fma_f64 v[83:84], v[83:84], -0.5, v[79:80]
	v_fma_f64 v[85:86], v[85:86], -0.5, v[77:78]
	v_add_f64 v[95:96], v[54:55], -v[50:51]
	v_add_f64 v[97:98], v[64:65], -v[52:53]
	;; [unrolled: 1-line block ×5, first 2 shown]
	v_fma_f64 v[79:80], v[91:92], -0.5, v[73:74]
	v_add_f64 v[52:53], v[89:90], v[52:53]
	v_fma_f64 v[73:74], v[109:110], -0.5, v[73:74]
	v_fma_f64 v[89:90], v[117:118], -0.5, v[75:76]
	;; [unrolled: 1-line block ×3, first 2 shown]
	v_add_f64 v[91:92], v[125:126], v[127:128]
	v_add_f64 v[105:106], v[40:41], -v[48:49]
	v_add_f64 v[115:116], v[48:49], -v[40:41]
	v_add_f64 v[109:110], v[129:130], v[131:132]
	v_add_f64 v[117:118], v[133:134], v[135:136]
	v_add_f64 v[121:122], v[66:67], -v[54:55]
	v_fma_f64 v[139:140], v[99:100], s[0:1], v[81:82]
	v_fma_f64 v[81:82], v[99:100], s[14:15], v[81:82]
	;; [unrolled: 1-line block ×8, first 2 shown]
	v_add_f64 v[66:67], v[54:55], -v[66:67]
	v_add_f64 v[54:55], v[107:108], v[54:55]
	v_add_f64 v[60:61], v[68:69], v[60:61]
	;; [unrolled: 1-line block ×3, first 2 shown]
	v_add_f64 v[153:154], v[42:43], -v[50:51]
	v_add_f64 v[77:78], v[50:51], -v[42:43]
	v_fma_f64 v[68:69], v[93:94], s[0:1], v[79:80]
	v_fma_f64 v[70:71], v[93:94], s[14:15], v[79:80]
	;; [unrolled: 1-line block ×5, first 2 shown]
	v_add_f64 v[97:98], v[97:98], v[105:106]
	v_add_f64 v[105:106], v[113:114], v[115:116]
	v_fma_f64 v[89:90], v[64:65], s[0:1], v[89:90]
	v_fma_f64 v[123:124], v[101:102], s[6:7], v[139:140]
	;; [unrolled: 1-line block ×3, first 2 shown]
	v_add_f64 v[101:102], v[137:138], v[149:150]
	v_fma_f64 v[87:88], v[103:104], s[16:17], v[87:88]
	v_fma_f64 v[125:126], v[111:112], s[16:17], v[141:142]
	;; [unrolled: 1-line block ×8, first 2 shown]
	v_add_f64 v[48:49], v[52:53], v[48:49]
	v_add_f64 v[50:51], v[54:55], v[50:51]
	;; [unrolled: 1-line block ×5, first 2 shown]
	v_fma_f64 v[56:57], v[95:96], s[6:7], v[68:69]
	v_fma_f64 v[60:61], v[93:94], s[6:7], v[79:80]
	;; [unrolled: 1-line block ×8, first 2 shown]
	v_add_f64 v[91:92], v[121:122], v[153:154]
	v_mul_lo_u16 v119, 0xcd, v160
	v_fma_f64 v[113:114], v[117:118], s[12:13], v[125:126]
	v_fma_f64 v[115:116], v[109:110], s[12:13], v[127:128]
	;; [unrolled: 1-line block ×8, first 2 shown]
	v_add_f64 v[48:49], v[48:49], v[40:41]
	v_add_f64 v[50:51], v[50:51], v[42:43]
	;; [unrolled: 1-line block ×4, first 2 shown]
	v_fma_f64 v[107:108], v[97:98], s[12:13], v[56:57]
	v_fma_f64 v[109:110], v[105:106], s[12:13], v[60:61]
	;; [unrolled: 1-line block ×3, first 2 shown]
	v_mul_lo_u16 v40, 0xcd, v162
	v_fma_f64 v[97:98], v[97:98], s[12:13], v[58:59]
	v_mul_lo_u16 v41, v163, 10
	v_mul_f64 v[77:78], v[103:104], s[18:19]
	v_mul_f64 v[93:94], v[103:104], s[16:17]
	;; [unrolled: 1-line block ×3, first 2 shown]
	v_fma_f64 v[111:112], v[91:92], s[12:13], v[68:69]
	v_mul_f64 v[79:80], v[113:114], s[0:1]
	v_mul_f64 v[87:88], v[115:116], s[12:13]
	;; [unrolled: 1-line block ×5, first 2 shown]
	v_fma_f64 v[91:92], v[91:92], s[12:13], v[70:71]
	v_fma_f64 v[117:118], v[66:67], s[12:13], v[64:65]
	;; [unrolled: 1-line block ×3, first 2 shown]
	v_lshrrev_b16 v127, 11, v40
	v_sub_nc_u16 v132, v72, v41
	v_add_f64 v[40:41], v[48:49], v[44:45]
	v_add_f64 v[42:43], v[50:51], v[46:47]
	v_add_f64 v[44:45], v[48:49], -v[44:45]
	v_add_f64 v[46:47], v[50:51], -v[46:47]
	v_mul_lo_u16 v120, 0xcd, v161
	v_lshrrev_b16 v124, 11, v164
	v_lshrrev_b16 v125, 11, v119
	v_fma_f64 v[64:65], v[75:76], s[6:7], v[77:78]
	v_fma_f64 v[75:76], v[75:76], s[18:19], v[93:94]
	v_fma_f64 v[77:78], v[99:100], s[6:7], -v[89:90]
	v_lshrrev_b16 v126, 11, v120
	v_fma_f64 v[66:67], v[85:86], s[12:13], v[79:80]
	v_fma_f64 v[73:74], v[83:84], s[0:1], -v[87:88]
	v_fma_f64 v[79:80], v[113:114], s[12:13], v[95:96]
	v_fma_f64 v[83:84], v[115:116], s[14:15], -v[101:102]
	v_fma_f64 v[81:82], v[81:82], s[16:17], -v[103:104]
	v_mul_lo_u16 v85, v124, 10
	v_mul_lo_u16 v86, v125, 10
	;; [unrolled: 1-line block ×3, first 2 shown]
	v_sub_nc_u16 v133, v155, v85
	v_sub_nc_u16 v140, v156, v86
	v_sub_nc_u16 v141, v157, v87
	v_add_f64 v[48:49], v[107:108], v[64:65]
	v_add_f64 v[50:51], v[111:112], v[75:76]
	;; [unrolled: 1-line block ×3, first 2 shown]
	v_add_f64 v[64:65], v[107:108], -v[64:65]
	v_add_f64 v[52:53], v[109:110], v[66:67]
	v_add_f64 v[56:57], v[105:106], v[73:74]
	;; [unrolled: 1-line block ×5, first 2 shown]
	v_add_f64 v[68:69], v[109:110], -v[66:67]
	v_add_f64 v[66:67], v[111:112], -v[75:76]
	;; [unrolled: 1-line block ×7, first 2 shown]
	v_mul_lo_u16 v81, v127, 10
	v_lshlrev_b32_sdwa v82, v143, v132 dst_sel:DWORD dst_unused:UNUSED_PAD src0_sel:DWORD src1_sel:BYTE_0
	v_lshlrev_b32_sdwa v83, v143, v140 dst_sel:DWORD dst_unused:UNUSED_PAD src0_sel:DWORD src1_sel:BYTE_0
	ds_write_b128 v217, v[40:43]
	ds_write_b128 v217, v[44:47] offset:80
	ds_write_b128 v217, v[48:51] offset:16
	;; [unrolled: 1-line block ×9, first 2 shown]
	v_sub_nc_u16 v142, v158, v81
	v_lshlrev_b32_sdwa v81, v143, v133 dst_sel:DWORD dst_unused:UNUSED_PAD src0_sel:DWORD src1_sel:BYTE_0
	v_lshlrev_b32_sdwa v40, v143, v141 dst_sel:DWORD dst_unused:UNUSED_PAD src0_sel:DWORD src1_sel:BYTE_0
	s_waitcnt lgkmcnt(0)
	s_barrier
	v_lshlrev_b32_sdwa v41, v143, v142 dst_sel:DWORD dst_unused:UNUSED_PAD src0_sel:DWORD src1_sel:BYTE_0
	buffer_gl0_inv
	s_clause 0x4
	global_load_dwordx4 v[52:55], v82, s[2:3]
	global_load_dwordx4 v[56:59], v81, s[2:3]
	;; [unrolled: 1-line block ×5, first 2 shown]
	ds_read_b128 v[40:43], v212 offset:1760
	ds_read_b128 v[64:67], v212 offset:2112
	;; [unrolled: 1-line block ×6, first 2 shown]
	ds_read_b128 v[85:88], v212
	ds_read_b128 v[89:92], v212 offset:352
	ds_read_b128 v[93:96], v212 offset:704
	;; [unrolled: 1-line block ×3, first 2 shown]
	s_waitcnt vmcnt(0) lgkmcnt(0)
	s_barrier
	buffer_gl0_inv
	v_mul_f64 v[97:98], v[42:43], v[54:55]
	v_mul_f64 v[99:100], v[40:41], v[54:55]
	;; [unrolled: 1-line block ×10, first 2 shown]
	v_fma_f64 v[40:41], v[40:41], v[52:53], -v[97:98]
	v_fma_f64 v[42:43], v[42:43], v[52:53], v[99:100]
	v_fma_f64 v[64:65], v[64:65], v[56:57], -v[101:102]
	v_fma_f64 v[66:67], v[66:67], v[56:57], v[103:104]
	;; [unrolled: 2-line block ×5, first 2 shown]
	v_add_f64 v[112:113], v[85:86], -v[40:41]
	v_add_f64 v[114:115], v[87:88], -v[42:43]
	;; [unrolled: 1-line block ×10, first 2 shown]
	v_mov_b32_e32 v40, 20
	v_mad_u16 v43, v163, 20, v132
	v_mad_u16 v64, v124, 20, v133
	v_mul_u32_u24_sdwa v41, v125, v40 dst_sel:DWORD dst_unused:UNUSED_PAD src0_sel:WORD_0 src1_sel:DWORD
	v_mul_u32_u24_sdwa v42, v126, v40 dst_sel:DWORD dst_unused:UNUSED_PAD src0_sel:WORD_0 src1_sel:DWORD
	;; [unrolled: 1-line block ×3, first 2 shown]
	v_and_b32_e32 v43, 0xff, v43
	v_and_b32_e32 v64, 0xff, v64
	v_add_nc_u32_sdwa v41, v41, v140 dst_sel:DWORD dst_unused:UNUSED_PAD src0_sel:DWORD src1_sel:BYTE_0
	v_add_nc_u32_sdwa v42, v42, v141 dst_sel:DWORD dst_unused:UNUSED_PAD src0_sel:DWORD src1_sel:BYTE_0
	v_fma_f64 v[104:105], v[85:86], 2.0, -v[112:113]
	v_fma_f64 v[106:107], v[87:88], 2.0, -v[114:115]
	;; [unrolled: 1-line block ×10, first 2 shown]
	v_add_nc_u32_sdwa v40, v40, v142 dst_sel:DWORD dst_unused:UNUSED_PAD src0_sel:DWORD src1_sel:BYTE_0
	v_lshl_add_u32 v221, v43, 4, v213
	v_lshl_add_u32 v219, v41, 4, v213
	;; [unrolled: 1-line block ×5, first 2 shown]
	ds_write_b128 v221, v[112:115] offset:160
	ds_write_b128 v221, v[104:107]
	ds_write_b128 v220, v[132:135]
	ds_write_b128 v220, v[108:111] offset:160
	ds_write_b128 v219, v[124:127]
	ds_write_b128 v219, v[100:103] offset:160
	;; [unrolled: 2-line block ×4, first 2 shown]
	s_waitcnt lgkmcnt(0)
	s_barrier
	buffer_gl0_inv
                                        ; implicit-def: $vgpr140_vgpr141
	s_and_saveexec_b32 s0, vcc_lo
	s_cbranch_execz .LBB0_3
; %bb.2:
	ds_read_b128 v[104:107], v212
	ds_read_b128 v[112:115], v212 offset:320
	ds_read_b128 v[132:135], v212 offset:640
	;; [unrolled: 1-line block ×10, first 2 shown]
.LBB0_3:
	s_or_b32 exec_lo, exec_lo, s0
	v_subrev_nc_u32_e32 v40, 20, v218
	s_mov_b32 s6, 0x8eee2c13
	s_mov_b32 s7, 0xbfed1bb4
	s_mov_b32 s12, 0xd9c712b6
	s_mov_b32 s14, 0x43842ef
	v_cndmask_b32_e32 v40, v40, v218, vcc_lo
	s_mov_b32 s13, 0x3fda9628
	s_mov_b32 s15, 0xbfefac9e
	;; [unrolled: 1-line block ×4, first 2 shown]
	v_mul_i32_i24_e32 v41, 0xa0, v40
	v_mul_hi_i32_i24_e32 v40, 0xa0, v40
	s_mov_b32 s19, 0xbfc2375f
	s_mov_b32 s17, 0xbfe82f19
	;; [unrolled: 1-line block ×3, first 2 shown]
	v_add_co_u32 v80, s0, s2, v41
	v_add_co_ci_u32_e64 v81, s0, s3, v40, s0
	s_mov_b32 s0, 0xf8bb580b
	s_mov_b32 s1, 0xbfe14ced
	;; [unrolled: 1-line block ×3, first 2 shown]
	s_clause 0x9
	global_load_dwordx4 v[40:43], v[80:81], off offset:160
	global_load_dwordx4 v[96:99], v[80:81], off offset:304
	;; [unrolled: 1-line block ×10, first 2 shown]
	s_mov_b32 s3, 0x3feaeb8c
	s_mov_b32 s22, 0xfd768dbf
	;; [unrolled: 1-line block ×6, first 2 shown]
	s_waitcnt vmcnt(9) lgkmcnt(9)
	v_mul_f64 v[147:148], v[112:113], v[42:43]
	s_waitcnt vmcnt(8) lgkmcnt(0)
	v_mul_f64 v[149:150], v[140:141], v[98:99]
	v_mul_f64 v[151:152], v[114:115], v[42:43]
	;; [unrolled: 1-line block ×3, first 2 shown]
	s_waitcnt vmcnt(7)
	v_mul_f64 v[155:156], v[134:135], v[90:91]
	v_mul_f64 v[157:158], v[132:133], v[90:91]
	s_waitcnt vmcnt(6)
	v_mul_f64 v[159:160], v[130:131], v[94:95]
	v_mul_f64 v[161:162], v[128:129], v[94:95]
	s_waitcnt vmcnt(2)
	v_mul_f64 v[163:164], v[118:119], v[74:75]
	s_waitcnt vmcnt(1)
	v_mul_f64 v[165:166], v[102:103], v[86:87]
	v_mul_f64 v[167:168], v[100:101], v[86:87]
	s_waitcnt vmcnt(0)
	v_mul_f64 v[169:170], v[122:123], v[82:83]
	v_mul_f64 v[173:174], v[120:121], v[82:83]
	v_fma_f64 v[183:184], v[114:115], v[40:41], v[147:148]
	v_fma_f64 v[114:115], v[142:143], v[96:97], v[149:150]
	v_fma_f64 v[185:186], v[112:113], v[40:41], -v[151:152]
	v_fma_f64 v[112:113], v[140:141], v[96:97], -v[153:154]
	v_mul_f64 v[140:141], v[110:111], v[66:67]
	v_mul_f64 v[147:148], v[108:109], v[66:67]
	;; [unrolled: 1-line block ×4, first 2 shown]
	v_fma_f64 v[132:133], v[132:133], v[88:89], -v[155:156]
	v_fma_f64 v[134:135], v[134:135], v[88:89], v[157:158]
	v_fma_f64 v[130:131], v[130:131], v[92:93], v[161:162]
	v_fma_f64 v[128:129], v[128:129], v[92:93], -v[159:160]
	v_mul_f64 v[153:154], v[124:125], v[78:79]
	v_mul_f64 v[155:156], v[116:117], v[74:75]
	;; [unrolled: 1-line block ×3, first 2 shown]
	v_fma_f64 v[175:176], v[100:101], v[84:85], -v[165:166]
	v_fma_f64 v[177:178], v[102:103], v[84:85], v[167:168]
	v_fma_f64 v[171:172], v[120:121], v[80:81], -v[169:170]
	v_fma_f64 v[173:174], v[122:123], v[80:81], v[173:174]
	v_add_f64 v[191:192], v[183:184], -v[114:115]
	v_add_f64 v[205:206], v[183:184], v[114:115]
	v_add_f64 v[193:194], v[185:186], -v[112:113]
	v_fma_f64 v[142:143], v[108:109], v[64:65], -v[140:141]
	v_fma_f64 v[147:148], v[110:111], v[64:65], v[147:148]
	v_fma_f64 v[140:141], v[136:137], v[68:69], -v[149:150]
	v_fma_f64 v[138:139], v[138:139], v[68:69], v[151:152]
	v_add_f64 v[201:202], v[185:186], v[112:113]
	v_add_f64 v[136:137], v[134:135], -v[130:131]
	v_add_f64 v[108:109], v[132:133], -v[128:129]
	v_fma_f64 v[159:160], v[126:127], v[76:77], v[153:154]
	v_fma_f64 v[151:152], v[118:119], v[72:73], v[155:156]
	v_fma_f64 v[161:162], v[124:125], v[76:77], -v[157:158]
	v_fma_f64 v[153:154], v[116:117], v[72:73], -v[163:164]
	v_add_f64 v[110:111], v[132:133], v[128:129]
	v_add_f64 v[149:150], v[134:135], v[130:131]
	v_add_f64 v[157:158], v[175:176], -v[171:172]
	v_mul_f64 v[207:208], v[191:192], s[0:1]
	v_mul_f64 v[209:210], v[193:194], s[0:1]
	v_add_f64 v[116:117], v[142:143], -v[140:141]
	v_add_f64 v[124:125], v[147:148], -v[138:139]
	v_add_f64 v[118:119], v[142:143], v[140:141]
	v_add_f64 v[165:166], v[147:148], v[138:139]
	v_mul_f64 v[179:180], v[136:137], s[6:7]
	v_mul_f64 v[181:182], v[108:109], s[6:7]
	v_add_f64 v[163:164], v[159:160], -v[151:152]
	v_add_f64 v[169:170], v[159:160], v[151:152]
	v_add_f64 v[120:121], v[161:162], -v[153:154]
	v_add_f64 v[122:123], v[161:162], v[153:154]
	v_mul_f64 v[203:204], v[157:158], s[22:23]
	v_fma_f64 v[126:127], v[201:202], s[2:3], v[207:208]
	v_fma_f64 v[155:156], v[205:206], s[2:3], -v[209:210]
	v_mul_f64 v[189:190], v[116:117], s[14:15]
	v_mul_f64 v[187:188], v[124:125], s[14:15]
	v_fma_f64 v[100:101], v[110:111], s[12:13], v[179:180]
	v_fma_f64 v[102:103], v[149:150], s[12:13], -v[181:182]
	v_mul_f64 v[195:196], v[163:164], s[16:17]
	v_mul_f64 v[199:200], v[120:121], s[16:17]
	v_add_f64 v[167:168], v[104:105], v[126:127]
	v_add_f64 v[126:127], v[177:178], -v[173:174]
	v_add_f64 v[155:156], v[106:107], v[155:156]
	v_fma_f64 v[224:225], v[165:166], s[18:19], -v[189:190]
	v_fma_f64 v[222:223], v[118:119], s[18:19], v[187:188]
	v_fma_f64 v[226:227], v[122:123], s[20:21], v[195:196]
	v_fma_f64 v[228:229], v[169:170], s[20:21], -v[199:200]
	v_add_f64 v[100:101], v[100:101], v[167:168]
	v_add_f64 v[167:168], v[177:178], v[173:174]
	;; [unrolled: 1-line block ×4, first 2 shown]
	v_mul_f64 v[197:198], v[126:127], s[22:23]
	v_add_f64 v[100:101], v[222:223], v[100:101]
	v_add_f64 v[102:103], v[224:225], v[102:103]
	v_fma_f64 v[224:225], v[167:168], s[24:25], -v[203:204]
	v_fma_f64 v[222:223], v[155:156], s[24:25], v[197:198]
	v_add_f64 v[100:101], v[226:227], v[100:101]
	v_add_f64 v[102:103], v[228:229], v[102:103]
	;; [unrolled: 1-line block ×4, first 2 shown]
	s_and_saveexec_b32 s33, vcc_lo
	s_cbranch_execz .LBB0_5
; %bb.4:
	v_mul_f64 v[222:223], v[205:206], s[2:3]
	v_mov_b32_e32 v6, v234
	v_mov_b32_e32 v10, v238
	v_mul_f64 v[224:225], v[205:206], s[20:21]
	v_mul_f64 v[226:227], v[205:206], s[18:19]
	v_mov_b32_e32 v7, v235
	v_mov_b32_e32 v8, v236
	;; [unrolled: 1-line block ×3, first 2 shown]
	v_mul_f64 v[236:237], v[191:192], s[16:17]
	v_mov_b32_e32 v11, v239
	v_mov_b32_e32 v12, v240
	;; [unrolled: 1-line block ×3, first 2 shown]
	v_mul_f64 v[238:239], v[191:192], s[14:15]
	s_mov_b32 s31, 0x3fd207e7
	s_mov_b32 s30, s22
	;; [unrolled: 1-line block ×8, first 2 shown]
	v_mov_b32_e32 v2, v230
	v_add_f64 v[209:210], v[209:210], v[222:223]
	v_mul_f64 v[222:223], v[201:202], s[2:3]
	v_mov_b32_e32 v14, v242
	v_mov_b32_e32 v3, v231
	v_mov_b32_e32 v4, v232
	v_mov_b32_e32 v5, v233
	v_fma_f64 v[230:231], v[193:194], s[26:27], v[224:225]
	v_fma_f64 v[224:225], v[193:194], s[16:17], v[224:225]
	;; [unrolled: 1-line block ×4, first 2 shown]
	v_mov_b32_e32 v15, v243
	v_mov_b32_e32 v16, v244
	;; [unrolled: 1-line block ×3, first 2 shown]
	v_fma_f64 v[242:243], v[201:202], s[20:21], v[236:237]
	v_fma_f64 v[244:245], v[201:202], s[18:19], -v[238:239]
	v_mov_b32_e32 v18, v246
	v_fma_f64 v[236:237], v[201:202], s[20:21], -v[236:237]
	v_fma_f64 v[238:239], v[201:202], s[18:19], v[238:239]
	v_mov_b32_e32 v19, v247
	v_mov_b32_e32 v20, v248
	;; [unrolled: 1-line block ×3, first 2 shown]
	v_add_f64 v[248:249], v[104:105], v[185:186]
	s_mov_b32 s35, 0x3fe14ced
	v_add_f64 v[207:208], v[222:223], -v[207:208]
	v_mul_f64 v[222:223], v[205:206], s[24:25]
	v_mul_f64 v[205:206], v[205:206], s[12:13]
	s_mov_b32 s34, s0
	v_add_f64 v[209:210], v[106:107], v[209:210]
	v_add_f64 v[224:225], v[106:107], v[224:225]
	;; [unrolled: 1-line block ×8, first 2 shown]
	v_fma_f64 v[228:229], v[193:194], s[30:31], v[222:223]
	v_fma_f64 v[222:223], v[193:194], s[22:23], v[222:223]
	;; [unrolled: 1-line block ×4, first 2 shown]
	v_mul_f64 v[205:206], v[191:192], s[22:23]
	v_mul_f64 v[191:192], v[191:192], s[6:7]
	v_add_f64 v[132:133], v[132:133], v[142:143]
	v_mul_f64 v[142:143], v[149:150], s[24:25]
	v_add_f64 v[222:223], v[106:107], v[222:223]
	v_add_f64 v[234:235], v[106:107], v[234:235]
	;; [unrolled: 1-line block ×3, first 2 shown]
	v_fma_f64 v[240:241], v[201:202], s[24:25], v[205:206]
	v_fma_f64 v[205:206], v[201:202], s[24:25], -v[205:206]
	v_fma_f64 v[246:247], v[201:202], s[12:13], -v[191:192]
	v_fma_f64 v[191:192], v[201:202], s[12:13], v[191:192]
	v_add_f64 v[201:202], v[106:107], v[183:184]
	v_add_f64 v[183:184], v[106:107], v[228:229]
	;; [unrolled: 1-line block ×5, first 2 shown]
	v_mul_f64 v[244:245], v[149:150], s[2:3]
	v_add_f64 v[132:133], v[132:133], v[161:162]
	v_add_f64 v[185:186], v[104:105], v[240:241]
	;; [unrolled: 1-line block ×5, first 2 shown]
	v_mov_b32_e32 v191, v250
	v_mov_b32_e32 v192, v251
	;; [unrolled: 1-line block ×4, first 2 shown]
	v_add_f64 v[134:135], v[201:202], v[134:135]
	v_fma_f64 v[104:105], v[108:109], s[0:1], v[244:245]
	v_fma_f64 v[244:245], v[108:109], s[34:35], v[244:245]
	v_mul_f64 v[201:202], v[163:164], s[36:37]
	buffer_store_dword v0, off, s[40:43], 0 offset:8 ; 4-byte Folded Spill
	buffer_store_dword v1, off, s[40:43], 0 offset:12 ; 4-byte Folded Spill
	buffer_store_dword v114, off, s[40:43], 0 ; 4-byte Folded Spill
	buffer_store_dword v115, off, s[40:43], 0 offset:4 ; 4-byte Folded Spill
	v_mov_b32_e32 v114, v216
	v_mov_b32_e32 v216, v211
	v_mov_b32_e32 v211, v213
	v_mov_b32_e32 v213, v218
	v_add_f64 v[104:105], v[104:105], v[183:184]
	v_mul_f64 v[183:184], v[136:137], s[34:35]
	v_add_f64 v[222:223], v[244:245], v[222:223]
	v_mov_b32_e32 v115, v219
	v_mul_f64 v[218:219], v[167:168], s[18:19]
	v_add_f64 v[134:135], v[134:135], v[147:148]
	v_add_f64 v[132:133], v[132:133], v[175:176]
	v_fma_f64 v[147:148], v[108:109], s[30:31], v[142:143]
	v_mul_f64 v[175:176], v[165:166], s[12:13]
	v_mov_b32_e32 v0, v112
	v_mov_b32_e32 v1, v113
	;; [unrolled: 1-line block ×4, first 2 shown]
	v_mul_f64 v[220:221], v[126:127], s[14:15]
	v_fma_f64 v[106:107], v[110:111], s[2:3], v[183:184]
	v_fma_f64 v[183:184], v[110:111], s[2:3], -v[183:184]
	v_add_f64 v[134:135], v[134:135], v[159:160]
	v_mul_f64 v[159:160], v[136:137], s[30:31]
	v_add_f64 v[132:133], v[132:133], v[171:172]
	v_add_f64 v[147:148], v[147:148], v[226:227]
	v_mul_f64 v[171:172], v[124:125], s[28:29]
	v_add_f64 v[106:107], v[106:107], v[185:186]
	v_mul_f64 v[185:186], v[165:166], s[20:21]
	v_add_f64 v[183:184], v[183:184], v[205:206]
	v_add_f64 v[134:135], v[134:135], v[177:178]
	v_fma_f64 v[161:162], v[110:111], s[24:25], -v[159:160]
	v_fma_f64 v[177:178], v[116:117], s[28:29], v[175:176]
	v_add_f64 v[132:133], v[132:133], v[153:154]
	v_fma_f64 v[246:247], v[116:117], s[26:27], v[185:186]
	v_fma_f64 v[185:186], v[116:117], s[16:17], v[185:186]
	v_add_f64 v[134:135], v[134:135], v[173:174]
	v_add_f64 v[161:162], v[161:162], v[242:243]
	;; [unrolled: 1-line block ×3, first 2 shown]
	v_fma_f64 v[173:174], v[118:119], s[12:13], -v[171:172]
	v_add_f64 v[132:133], v[132:133], v[140:141]
	v_mov_b32_e32 v245, v17
	v_mov_b32_e32 v244, v16
	;; [unrolled: 1-line block ×4, first 2 shown]
	v_add_f64 v[104:105], v[246:247], v[104:105]
	v_mul_f64 v[246:247], v[124:125], s[16:17]
	v_add_f64 v[185:186], v[185:186], v[222:223]
	v_add_f64 v[134:135], v[134:135], v[151:152]
	v_mul_f64 v[151:152], v[169:170], s[2:3]
	v_add_f64 v[161:162], v[173:174], v[161:162]
	v_add_f64 v[128:129], v[132:133], v[128:129]
	v_mul_f64 v[132:133], v[136:137], s[36:37]
	v_fma_f64 v[250:251], v[118:119], s[20:21], v[246:247]
	v_fma_f64 v[205:206], v[118:119], s[20:21], -v[246:247]
	v_add_f64 v[134:135], v[134:135], v[138:139]
	v_fma_f64 v[153:154], v[120:121], s[0:1], v[151:152]
	v_mul_f64 v[138:139], v[149:150], s[18:19]
	v_mov_b32_e32 v249, v21
	v_mov_b32_e32 v248, v20
	;; [unrolled: 1-line block ×4, first 2 shown]
	v_add_f64 v[106:107], v[250:251], v[106:107]
	v_mul_f64 v[250:251], v[169:170], s[12:13]
	v_add_f64 v[183:184], v[205:206], v[183:184]
	v_add_f64 v[147:148], v[153:154], v[147:148]
	v_fma_f64 v[140:141], v[108:109], s[36:37], v[138:139]
	v_add_f64 v[130:131], v[134:135], v[130:131]
	v_fma_f64 v[134:135], v[110:111], s[18:19], -v[132:133]
	v_fma_f64 v[138:139], v[108:109], s[14:15], v[138:139]
	v_fma_f64 v[132:133], v[110:111], s[18:19], v[132:133]
	v_fma_f64 v[252:253], v[120:121], s[6:7], v[250:251]
	v_fma_f64 v[205:206], v[120:121], s[28:29], v[250:251]
	v_add_f64 v[140:141], v[140:141], v[224:225]
	v_add_f64 v[134:135], v[134:135], v[236:237]
	v_add_f64 v[138:139], v[138:139], v[228:229]
	v_add_f64 v[132:133], v[132:133], v[230:231]
	v_add_f64 v[104:105], v[252:253], v[104:105]
	v_mul_f64 v[252:253], v[163:164], s[28:29]
	v_add_f64 v[185:186], v[205:206], v[185:186]
	v_fma_f64 v[205:206], v[122:123], s[12:13], -v[252:253]
	v_fma_f64 v[254:255], v[122:123], s[12:13], v[252:253]
	v_mov_b32_e32 v253, v194
	v_mov_b32_e32 v252, v193
	;; [unrolled: 1-line block ×4, first 2 shown]
	v_add_f64 v[183:184], v[205:206], v[183:184]
	v_fma_f64 v[205:206], v[157:158], s[14:15], v[218:219]
	v_add_f64 v[254:255], v[254:255], v[106:107]
	v_fma_f64 v[106:107], v[157:158], s[36:37], v[218:219]
	v_fma_f64 v[218:219], v[155:156], s[18:19], -v[220:221]
	v_add_f64 v[185:186], v[205:206], v[185:186]
	v_mul_f64 v[205:206], v[149:150], s[12:13]
	v_add_f64 v[106:107], v[106:107], v[104:105]
	v_fma_f64 v[104:105], v[155:156], s[18:19], v[220:221]
	v_add_f64 v[183:184], v[218:219], v[183:184]
	v_mov_b32_e32 v219, v115
	v_mov_b32_e32 v218, v213
	;; [unrolled: 1-line block ×7, first 2 shown]
	v_lshl_add_u32 v112, v218, 4, v213
	v_add_f64 v[181:182], v[181:182], v[205:206]
	v_mul_f64 v[205:206], v[110:111], s[12:13]
	v_add_f64 v[104:105], v[104:105], v[254:255]
	v_add_f64 v[181:182], v[181:182], v[209:210]
	v_add_f64 v[179:180], v[205:206], -v[179:180]
	v_mul_f64 v[205:206], v[165:166], s[18:19]
	v_add_f64 v[179:180], v[179:180], v[207:208]
	v_add_f64 v[189:190], v[189:190], v[205:206]
	v_mul_f64 v[205:206], v[118:119], s[18:19]
	v_add_f64 v[181:182], v[189:190], v[181:182]
	v_add_f64 v[187:188], v[205:206], -v[187:188]
	v_mul_f64 v[205:206], v[169:170], s[20:21]
	v_add_f64 v[179:180], v[187:188], v[179:180]
	v_add_f64 v[199:200], v[199:200], v[205:206]
	v_mul_f64 v[205:206], v[122:123], s[20:21]
	v_mul_f64 v[187:188], v[155:156], s[24:25]
	v_add_f64 v[181:182], v[199:200], v[181:182]
	v_add_f64 v[195:196], v[205:206], -v[195:196]
	v_add_f64 v[187:188], v[187:188], -v[197:198]
	v_mul_f64 v[205:206], v[167:168], s[24:25]
	v_mul_f64 v[199:200], v[165:166], s[24:25]
	v_add_f64 v[179:180], v[195:196], v[179:180]
	v_mul_f64 v[195:196], v[136:137], s[16:17]
	v_add_f64 v[203:204], v[203:204], v[205:206]
	;; [unrolled: 2-line block ×3, first 2 shown]
	v_mul_f64 v[187:188], v[149:150], s[20:21]
	v_mul_f64 v[149:150], v[163:164], s[0:1]
	v_add_f64 v[181:182], v[203:204], v[181:182]
	v_fma_f64 v[203:204], v[116:117], s[30:31], v[199:200]
	v_mul_f64 v[163:164], v[163:164], s[22:23]
	v_fma_f64 v[197:198], v[110:111], s[20:21], -v[195:196]
	v_fma_f64 v[189:190], v[108:109], s[16:17], v[187:188]
	v_fma_f64 v[153:154], v[122:123], s[2:3], -v[149:150]
	v_add_f64 v[197:198], v[197:198], v[240:241]
	v_add_f64 v[189:190], v[189:190], v[234:235]
	;; [unrolled: 1-line block ×3, first 2 shown]
	v_fma_f64 v[161:162], v[116:117], s[0:1], v[136:137]
	v_fma_f64 v[136:137], v[116:117], s[34:35], v[136:137]
	v_mov_b32_e32 v237, v9
	v_mov_b32_e32 v236, v8
	v_mov_b32_e32 v235, v7
	v_mov_b32_e32 v234, v6
	v_add_f64 v[189:190], v[203:204], v[189:190]
	v_mul_f64 v[203:204], v[124:125], s[30:31]
	v_mul_f64 v[124:125], v[124:125], s[0:1]
	v_add_f64 v[140:141], v[161:162], v[140:141]
	v_add_f64 v[136:137], v[136:137], v[138:139]
	v_fma_f64 v[138:139], v[116:117], s[6:7], v[175:176]
	v_fma_f64 v[116:117], v[116:117], s[22:23], v[199:200]
	v_fma_f64 v[205:206], v[118:119], s[24:25], -v[203:204]
	v_fma_f64 v[161:162], v[118:119], s[2:3], -v[124:125]
	v_fma_f64 v[124:125], v[118:119], s[2:3], v[124:125]
	v_add_f64 v[197:198], v[205:206], v[197:198]
	v_add_f64 v[134:135], v[161:162], v[134:135]
	v_mul_f64 v[161:162], v[169:170], s[24:25]
	v_add_f64 v[124:125], v[124:125], v[132:133]
	v_mul_f64 v[205:206], v[169:170], s[18:19]
	v_fma_f64 v[132:133], v[120:121], s[30:31], v[161:162]
	v_fma_f64 v[165:166], v[120:121], s[22:23], v[161:162]
	;; [unrolled: 1-line block ×3, first 2 shown]
	v_mul_f64 v[161:162], v[126:127], s[28:29]
	v_add_f64 v[132:133], v[132:133], v[136:137]
	v_fma_f64 v[136:137], v[122:123], s[24:25], v[163:164]
	v_add_f64 v[189:190], v[207:208], v[189:190]
	v_fma_f64 v[207:208], v[122:123], s[18:19], -v[201:202]
	v_add_f64 v[140:141], v[165:166], v[140:141]
	v_fma_f64 v[165:166], v[122:123], s[24:25], -v[163:164]
	v_add_f64 v[136:137], v[136:137], v[124:125]
	v_fma_f64 v[124:125], v[108:109], s[22:23], v[142:143]
	v_fma_f64 v[142:143], v[118:119], s[12:13], v[171:172]
	;; [unrolled: 1-line block ×4, first 2 shown]
	v_add_f64 v[197:198], v[207:208], v[197:198]
	v_add_f64 v[134:135], v[165:166], v[134:135]
	;; [unrolled: 1-line block ×3, first 2 shown]
	v_mov_b32_e32 v233, v5
	v_mov_b32_e32 v232, v4
	v_mov_b32_e32 v231, v3
	v_mov_b32_e32 v230, v2
	s_clause 0x1
	buffer_load_dword v2, off, s[40:43], 0 offset:8
	buffer_load_dword v3, off, s[40:43], 0 offset:12
	v_add_f64 v[108:109], v[108:109], v[22:23]
	v_add_f64 v[124:125], v[138:139], v[124:125]
	v_fma_f64 v[138:139], v[110:111], s[24:25], v[159:160]
	v_fma_f64 v[110:111], v[110:111], s[20:21], v[195:196]
	v_add_f64 v[108:109], v[116:117], v[108:109]
	v_add_f64 v[138:139], v[138:139], v[238:239]
	v_mov_b32_e32 v241, v13
	v_mov_b32_e32 v240, v12
	;; [unrolled: 1-line block ×4, first 2 shown]
	v_add_f64 v[138:139], v[142:143], v[138:139]
	v_fma_f64 v[142:143], v[120:121], s[34:35], v[151:152]
	v_mul_f64 v[151:152], v[167:168], s[12:13]
	v_fma_f64 v[120:121], v[120:121], s[14:15], v[205:206]
	v_add_f64 v[142:143], v[142:143], v[124:125]
	v_fma_f64 v[124:125], v[122:123], s[2:3], v[149:150]
	v_mul_f64 v[149:150], v[167:168], s[20:21]
	v_fma_f64 v[163:164], v[157:158], s[28:29], v[151:152]
	v_fma_f64 v[151:152], v[157:158], s[6:7], v[151:152]
	;; [unrolled: 1-line block ×3, first 2 shown]
	v_add_f64 v[165:166], v[120:121], v[108:109]
	v_add_f64 v[138:139], v[124:125], v[138:139]
	v_mul_f64 v[124:125], v[167:168], s[2:3]
	v_fma_f64 v[116:117], v[157:158], s[16:17], v[149:150]
	v_fma_f64 v[149:150], v[157:158], s[26:27], v[149:150]
	v_fma_f64 v[159:160], v[157:158], s[34:35], v[124:125]
	v_fma_f64 v[157:158], v[157:158], s[0:1], v[124:125]
	v_mul_f64 v[124:125], v[126:127], s[34:35]
	v_add_f64 v[116:117], v[116:117], v[147:148]
	v_fma_f64 v[108:109], v[155:156], s[2:3], -v[124:125]
	v_add_f64 v[108:109], v[108:109], v[197:198]
	s_waitcnt vmcnt(0)
	v_add_f64 v[110:111], v[110:111], v[2:3]
	s_clause 0x1
	buffer_load_dword v2, off, s[40:43], 0
	buffer_load_dword v3, off, s[40:43], 0 offset:4
	v_add_f64 v[110:111], v[118:119], v[110:111]
	v_mul_f64 v[118:119], v[126:127], s[16:17]
	v_fma_f64 v[126:127], v[155:156], s[12:13], -v[161:162]
	v_fma_f64 v[161:162], v[155:156], s[12:13], v[161:162]
	v_add_f64 v[171:172], v[122:123], v[110:111]
	v_fma_f64 v[167:168], v[155:156], s[20:21], -v[118:119]
	v_fma_f64 v[169:170], v[155:156], s[20:21], v[118:119]
	v_fma_f64 v[155:156], v[155:156], s[2:3], v[124:125]
	v_add_f64 v[118:119], v[128:129], v[0:1]
	v_add_f64 v[110:111], v[159:160], v[189:190]
	v_add_f64 v[124:125], v[163:164], v[140:141]
	v_add_f64 v[122:123], v[126:127], v[134:135]
	v_add_f64 v[128:129], v[151:152], v[132:133]
	v_add_f64 v[126:127], v[161:162], v[136:137]
	v_add_f64 v[132:133], v[149:150], v[142:143]
	v_add_f64 v[136:137], v[157:158], v[165:166]
	v_add_f64 v[114:115], v[167:168], v[153:154]
	v_add_f64 v[134:135], v[155:156], v[171:172]
	s_waitcnt vmcnt(0)
	v_add_f64 v[120:121], v[130:131], v[2:3]
	v_add_f64 v[130:131], v[169:170], v[138:139]
	ds_write_b128 v212, v[118:121]
	ds_write_b128 v112, v[179:182] offset:320
	ds_write_b128 v112, v[108:111] offset:640
	;; [unrolled: 1-line block ×10, first 2 shown]
.LBB0_5:
	s_or_b32 exec_lo, exec_lo, s33
	v_add_co_u32 v124, s0, 0xdc0, v214
	v_add_co_ci_u32_e64 v125, s0, 0, v215, s0
	v_add_co_u32 v132, s0, 0x1000, v214
	v_add_co_ci_u32_e64 v133, s0, 0, v215, s0
	v_add_co_u32 v140, s0, 0x1800, v214
	s_waitcnt lgkmcnt(0)
	s_waitcnt_vscnt null, 0x0
	s_barrier
	buffer_gl0_inv
	s_clause 0x5
	global_load_dwordx4 v[104:107], v[145:146], off offset:1472
	global_load_dwordx4 v[108:111], v[124:125], off offset:352
	;; [unrolled: 1-line block ×6, first 2 shown]
	v_add_co_ci_u32_e64 v141, s0, 0, v215, s0
	s_clause 0x3
	global_load_dwordx4 v[128:131], v[132:133], off offset:1536
	global_load_dwordx4 v[132:135], v[132:133], off offset:1888
	;; [unrolled: 1-line block ×4, first 2 shown]
	ds_read_b128 v[145:148], v212
	ds_read_b128 v[149:152], v212 offset:352
	ds_read_b128 v[153:156], v212 offset:704
	;; [unrolled: 1-line block ×9, first 2 shown]
	s_mov_b32 s6, 0x134454ff
	s_mov_b32 s7, 0xbfee6f0e
	;; [unrolled: 1-line block ×16, first 2 shown]
	s_waitcnt vmcnt(9) lgkmcnt(9)
	v_mul_f64 v[185:186], v[147:148], v[106:107]
	v_mul_f64 v[106:107], v[145:146], v[106:107]
	s_waitcnt vmcnt(8) lgkmcnt(8)
	v_mul_f64 v[187:188], v[151:152], v[110:111]
	v_mul_f64 v[110:111], v[149:150], v[110:111]
	;; [unrolled: 3-line block ×10, first 2 shown]
	v_fma_f64 v[145:146], v[145:146], v[104:105], -v[185:186]
	v_fma_f64 v[147:148], v[147:148], v[104:105], v[106:107]
	v_fma_f64 v[104:105], v[149:150], v[108:109], -v[187:188]
	v_fma_f64 v[106:107], v[151:152], v[108:109], v[110:111]
	;; [unrolled: 2-line block ×10, first 2 shown]
	ds_write_b128 v212, v[145:148]
	ds_write_b128 v212, v[104:107] offset:352
	ds_write_b128 v212, v[108:111] offset:704
	;; [unrolled: 1-line block ×9, first 2 shown]
	s_waitcnt lgkmcnt(0)
	s_barrier
	buffer_gl0_inv
	ds_read_b128 v[104:107], v212 offset:1056
	ds_read_b128 v[108:111], v212 offset:1760
	;; [unrolled: 1-line block ×8, first 2 shown]
	ds_read_b128 v[136:139], v212
	ds_read_b128 v[140:143], v212 offset:352
	s_waitcnt lgkmcnt(0)
	s_barrier
	buffer_gl0_inv
	v_add_f64 v[187:188], v[104:105], -v[108:109]
	v_add_f64 v[145:146], v[110:111], v[114:115]
	v_add_f64 v[147:148], v[106:107], v[118:119]
	;; [unrolled: 1-line block ×4, first 2 shown]
	v_add_f64 v[165:166], v[104:105], -v[116:117]
	v_add_f64 v[167:168], v[108:109], -v[112:113]
	;; [unrolled: 1-line block ×3, first 2 shown]
	v_add_f64 v[151:152], v[136:137], v[120:121]
	v_add_f64 v[153:154], v[124:125], v[128:129]
	;; [unrolled: 1-line block ×5, first 2 shown]
	v_add_f64 v[189:190], v[116:117], -v[112:113]
	v_add_f64 v[191:192], v[106:107], -v[110:111]
	;; [unrolled: 1-line block ×6, first 2 shown]
	v_add_f64 v[177:178], v[138:139], v[122:123]
	v_add_f64 v[106:107], v[142:143], v[106:107]
	v_add_f64 v[155:156], v[122:123], -v[134:135]
	v_add_f64 v[157:158], v[126:127], -v[130:131]
	v_fma_f64 v[145:146], v[145:146], -0.5, v[142:143]
	v_fma_f64 v[147:148], v[147:148], -0.5, v[142:143]
	;; [unrolled: 1-line block ×4, first 2 shown]
	v_add_f64 v[140:141], v[140:141], v[104:105]
	v_add_f64 v[159:160], v[120:121], -v[124:125]
	v_add_f64 v[161:162], v[132:133], -v[128:129]
	v_add_f64 v[173:174], v[124:125], -v[120:121]
	v_add_f64 v[175:176], v[128:129], -v[132:133]
	v_add_f64 v[120:121], v[120:121], -v[132:133]
	v_add_f64 v[181:182], v[124:125], -v[128:129]
	v_add_f64 v[104:105], v[108:109], -v[104:105]
	v_add_f64 v[214:215], v[112:113], -v[116:117]
	v_fma_f64 v[142:143], v[153:154], -0.5, v[136:137]
	v_add_f64 v[124:125], v[151:152], v[124:125]
	v_fma_f64 v[136:137], v[169:170], -0.5, v[136:137]
	v_fma_f64 v[151:152], v[179:180], -0.5, v[138:139]
	;; [unrolled: 1-line block ×3, first 2 shown]
	v_add_f64 v[153:154], v[187:188], v[189:190]
	v_add_f64 v[169:170], v[191:192], v[193:194]
	;; [unrolled: 1-line block ×3, first 2 shown]
	v_add_f64 v[183:184], v[122:123], -v[126:127]
	v_fma_f64 v[203:204], v[165:166], s[2:3], v[145:146]
	v_fma_f64 v[205:206], v[167:168], s[6:7], v[147:148]
	;; [unrolled: 1-line block ×8, first 2 shown]
	v_add_f64 v[122:123], v[126:127], -v[122:123]
	v_add_f64 v[126:127], v[177:178], v[126:127]
	v_add_f64 v[108:109], v[140:141], v[108:109]
	;; [unrolled: 1-line block ×3, first 2 shown]
	v_add_f64 v[201:202], v[134:135], -v[130:131]
	v_add_f64 v[159:160], v[159:160], v[161:162]
	v_add_f64 v[161:162], v[173:174], v[175:176]
	;; [unrolled: 1-line block ×3, first 2 shown]
	v_fma_f64 v[110:111], v[155:156], s[6:7], v[142:143]
	v_fma_f64 v[140:141], v[155:156], s[2:3], v[142:143]
	v_fma_f64 v[142:143], v[157:158], s[2:3], v[136:137]
	v_fma_f64 v[136:137], v[157:158], s[6:7], v[136:137]
	v_fma_f64 v[173:174], v[181:182], s[6:7], v[138:139]
	v_fma_f64 v[138:139], v[181:182], s[2:3], v[138:139]
	v_fma_f64 v[187:188], v[167:168], s[14:15], v[203:204]
	v_fma_f64 v[189:190], v[165:166], s[14:15], v[205:206]
	v_fma_f64 v[147:148], v[165:166], s[12:13], v[147:148]
	v_fma_f64 v[165:166], v[199:200], s[12:13], v[207:208]
	v_fma_f64 v[145:146], v[167:168], s[12:13], v[145:146]
	v_fma_f64 v[167:168], v[120:121], s[2:3], v[151:152]
	v_fma_f64 v[151:152], v[120:121], s[6:7], v[151:152]
	v_fma_f64 v[149:150], v[199:200], s[14:15], v[149:150]
	v_fma_f64 v[175:176], v[171:172], s[12:13], v[185:186]
	v_fma_f64 v[163:164], v[171:172], s[14:15], v[163:164]
	v_add_f64 v[209:210], v[130:131], -v[134:135]
	v_add_f64 v[124:125], v[124:125], v[128:129]
	v_add_f64 v[126:127], v[126:127], v[130:131]
	;; [unrolled: 1-line block ×4, first 2 shown]
	v_fma_f64 v[110:111], v[157:158], s[12:13], v[110:111]
	v_fma_f64 v[112:113], v[157:158], s[14:15], v[140:141]
	;; [unrolled: 1-line block ×11, first 2 shown]
	v_add_f64 v[169:170], v[183:184], v[201:202]
	v_fma_f64 v[130:131], v[181:182], s[14:15], v[167:168]
	v_fma_f64 v[136:137], v[181:182], s[12:13], v[151:152]
	;; [unrolled: 1-line block ×4, first 2 shown]
	v_add_f64 v[122:123], v[122:123], v[209:210]
	v_fma_f64 v[104:105], v[104:105], s[0:1], v[163:164]
	v_add_f64 v[124:125], v[124:125], v[132:133]
	v_add_f64 v[126:127], v[126:127], v[134:135]
	;; [unrolled: 1-line block ×4, first 2 shown]
	v_fma_f64 v[132:133], v[159:160], s[0:1], v[110:111]
	v_fma_f64 v[134:135], v[159:160], s[0:1], v[112:113]
	;; [unrolled: 1-line block ×4, first 2 shown]
	v_mul_f64 v[149:150], v[171:172], s[12:13]
	v_mul_f64 v[151:152], v[177:178], s[6:7]
	v_mul_f64 v[163:164], v[177:178], s[0:1]
	v_mul_f64 v[157:158], v[165:166], s[14:15]
	v_mul_f64 v[153:154], v[147:148], s[6:7]
	v_mul_f64 v[147:148], v[147:148], s[18:19]
	v_mul_f64 v[155:156], v[145:146], s[12:13]
	v_mul_f64 v[145:146], v[145:146], s[20:21]
	v_fma_f64 v[130:131], v[169:170], s[0:1], v[130:131]
	v_fma_f64 v[167:168], v[169:170], s[0:1], v[136:137]
	;; [unrolled: 1-line block ×4, first 2 shown]
	v_add_f64 v[106:107], v[126:127], v[116:117]
	v_add_f64 v[110:111], v[126:127], -v[116:117]
	v_fma_f64 v[128:129], v[165:166], s[16:17], v[149:150]
	v_fma_f64 v[136:137], v[142:143], s[0:1], v[151:152]
	;; [unrolled: 1-line block ×8, first 2 shown]
	v_add_f64 v[104:105], v[124:125], v[108:109]
	v_add_f64 v[108:109], v[124:125], -v[108:109]
	v_add_f64 v[112:113], v[132:133], v[128:129]
	v_add_f64 v[116:117], v[159:160], v[136:137]
	;; [unrolled: 1-line block ×8, first 2 shown]
	v_add_f64 v[128:129], v[132:133], -v[128:129]
	v_add_f64 v[130:131], v[130:131], -v[151:152]
	;; [unrolled: 1-line block ×8, first 2 shown]
	ds_write_b128 v217, v[104:107]
	ds_write_b128 v217, v[108:111] offset:80
	ds_write_b128 v217, v[112:115] offset:16
	;; [unrolled: 1-line block ×9, first 2 shown]
	s_waitcnt lgkmcnt(0)
	s_barrier
	buffer_gl0_inv
	ds_read_b128 v[104:107], v212 offset:1760
	ds_read_b128 v[108:111], v212 offset:2112
	;; [unrolled: 1-line block ×6, first 2 shown]
	ds_read_b128 v[128:131], v212
	ds_read_b128 v[132:135], v212 offset:352
	ds_read_b128 v[136:139], v212 offset:704
	ds_read_b128 v[140:143], v212 offset:1056
	s_waitcnt lgkmcnt(0)
	s_barrier
	buffer_gl0_inv
	v_mul_f64 v[145:146], v[54:55], v[106:107]
	v_mul_f64 v[54:55], v[54:55], v[104:105]
	;; [unrolled: 1-line block ×10, first 2 shown]
	v_fma_f64 v[104:105], v[52:53], v[104:105], v[145:146]
	v_fma_f64 v[54:55], v[52:53], v[106:107], -v[54:55]
	v_fma_f64 v[106:107], v[56:57], v[108:109], v[147:148]
	v_fma_f64 v[56:57], v[56:57], v[110:111], -v[58:59]
	;; [unrolled: 2-line block ×5, first 2 shown]
	v_add_f64 v[52:53], v[128:129], -v[104:105]
	v_add_f64 v[54:55], v[130:131], -v[54:55]
	;; [unrolled: 1-line block ×10, first 2 shown]
	v_fma_f64 v[44:45], v[128:129], 2.0, -v[52:53]
	v_fma_f64 v[46:47], v[130:131], 2.0, -v[54:55]
	;; [unrolled: 1-line block ×10, first 2 shown]
	ds_write_b128 v221, v[52:55] offset:160
	ds_write_b128 v221, v[44:47]
	ds_write_b128 v220, v[108:111]
	ds_write_b128 v220, v[48:51] offset:160
	ds_write_b128 v219, v[60:63]
	ds_write_b128 v219, v[56:59] offset:160
	;; [unrolled: 2-line block ×4, first 2 shown]
	s_waitcnt lgkmcnt(0)
	s_barrier
	buffer_gl0_inv
	s_and_saveexec_b32 s0, vcc_lo
	s_cbranch_execz .LBB0_7
; %bb.6:
	ds_read_b128 v[44:47], v212
	ds_read_b128 v[52:55], v212 offset:320
	ds_read_b128 v[108:111], v212 offset:640
	;; [unrolled: 1-line block ×10, first 2 shown]
.LBB0_7:
	s_or_b32 exec_lo, exec_lo, s0
	s_and_saveexec_b32 s33, vcc_lo
	s_cbranch_execz .LBB0_9
; %bb.8:
	s_waitcnt lgkmcnt(9)
	v_mul_f64 v[124:125], v[42:43], v[54:55]
	s_waitcnt lgkmcnt(0)
	v_mul_f64 v[126:127], v[98:99], v[102:103]
	v_mul_f64 v[128:129], v[42:43], v[52:53]
	;; [unrolled: 1-line block ×15, first 2 shown]
	s_mov_b32 s14, 0xbb3a28a1
	s_mov_b32 s12, 0xf8bb580b
	;; [unrolled: 1-line block ×6, first 2 shown]
	v_fma_f64 v[124:125], v[40:41], v[52:53], v[124:125]
	v_fma_f64 v[42:43], v[96:97], v[100:101], v[126:127]
	v_fma_f64 v[100:101], v[40:41], v[54:55], -v[128:129]
	v_fma_f64 v[40:41], v[96:97], v[102:103], -v[98:99]
	v_mul_f64 v[96:97], v[66:67], v[50:51]
	v_mul_f64 v[98:99], v[70:71], v[118:119]
	;; [unrolled: 1-line block ×4, first 2 shown]
	v_fma_f64 v[102:103], v[88:89], v[108:109], v[138:139]
	v_fma_f64 v[52:53], v[92:93], v[120:121], v[140:141]
	v_fma_f64 v[88:89], v[88:89], v[110:111], -v[90:91]
	v_fma_f64 v[54:55], v[92:93], v[122:123], -v[94:95]
	v_fma_f64 v[56:57], v[84:85], v[56:57], v[130:131]
	v_fma_f64 v[94:95], v[80:81], v[112:113], v[132:133]
	v_fma_f64 v[58:59], v[84:85], v[58:59], -v[86:87]
	v_fma_f64 v[80:81], v[80:81], v[114:115], -v[82:83]
	;; [unrolled: 4-line block ×3, first 2 shown]
	s_mov_b32 s16, 0x43842ef
	s_mov_b32 s2, 0x7f775887
	;; [unrolled: 1-line block ×3, first 2 shown]
	v_add_f64 v[90:91], v[124:125], -v[42:43]
	v_add_f64 v[74:75], v[124:125], v[42:43]
	v_add_f64 v[92:93], v[100:101], -v[40:41]
	v_fma_f64 v[76:77], v[64:65], v[48:49], v[96:97]
	v_fma_f64 v[48:49], v[68:69], v[116:117], v[98:99]
	v_fma_f64 v[64:65], v[64:65], v[50:51], -v[66:67]
	v_fma_f64 v[50:51], v[68:69], v[118:119], -v[70:71]
	v_add_f64 v[70:71], v[100:101], v[40:41]
	v_add_f64 v[66:67], v[102:103], -v[52:53]
	v_add_f64 v[112:113], v[102:103], v[52:53]
	v_add_f64 v[68:69], v[88:89], -v[54:55]
	v_add_f64 v[104:105], v[88:89], v[54:55]
	s_mov_b32 s17, 0xbfefac9e
	s_mov_b32 s3, 0xbfe4f49e
	;; [unrolled: 1-line block ×5, first 2 shown]
	v_add_f64 v[96:97], v[60:61], -v[82:83]
	v_add_f64 v[108:109], v[62:63], -v[72:73]
	s_mov_b32 s0, 0x640f44db
	s_mov_b32 s1, 0xbfc2375f
	;; [unrolled: 1-line block ×3, first 2 shown]
	v_mul_f64 v[78:79], v[90:91], s[22:23]
	v_mul_f64 v[136:137], v[90:91], s[14:15]
	;; [unrolled: 1-line block ×4, first 2 shown]
	v_add_f64 v[98:99], v[76:77], -v[48:49]
	v_add_f64 v[134:135], v[76:77], v[48:49]
	v_add_f64 v[110:111], v[64:65], -v[50:51]
	v_add_f64 v[128:129], v[64:65], v[50:51]
	v_mul_f64 v[114:115], v[66:67], s[12:13]
	v_mul_f64 v[163:164], v[90:91], s[16:17]
	;; [unrolled: 1-line block ×5, first 2 shown]
	s_mov_b32 s24, 0x8eee2c13
	s_mov_b32 s29, 0xbfe14ced
	;; [unrolled: 1-line block ×5, first 2 shown]
	v_add_f64 v[120:121], v[62:63], v[72:73]
	v_add_f64 v[132:133], v[60:61], v[82:83]
	;; [unrolled: 1-line block ×4, first 2 shown]
	v_fma_f64 v[122:123], v[70:71], s[18:19], v[78:79]
	v_fma_f64 v[78:79], v[70:71], s[18:19], -v[78:79]
	v_fma_f64 v[126:127], v[74:75], s[18:19], -v[84:85]
	v_fma_f64 v[84:85], v[74:75], s[18:19], v[84:85]
	v_mul_f64 v[142:143], v[98:99], s[14:15]
	v_fma_f64 v[167:168], v[70:71], s[2:3], v[136:137]
	v_mul_f64 v[151:152], v[110:111], s[14:15]
	v_mul_f64 v[140:141], v[96:97], s[24:25]
	v_fma_f64 v[153:154], v[104:105], s[6:7], v[114:115]
	v_fma_f64 v[114:115], v[104:105], s[6:7], -v[114:115]
	v_fma_f64 v[155:156], v[112:113], s[6:7], -v[116:117]
	v_fma_f64 v[116:117], v[112:113], s[6:7], v[116:117]
	v_mul_f64 v[147:148], v[108:109], s[24:25]
	v_mul_f64 v[161:162], v[98:99], s[28:29]
	;; [unrolled: 1-line block ×3, first 2 shown]
	v_fma_f64 v[181:182], v[74:75], s[2:3], -v[149:150]
	v_fma_f64 v[136:137], v[70:71], s[2:3], -v[136:137]
	v_fma_f64 v[149:150], v[74:75], s[2:3], v[149:150]
	v_fma_f64 v[185:186], v[104:105], s[0:1], v[165:166]
	v_fma_f64 v[189:190], v[74:75], s[0:1], -v[175:176]
	s_mov_b32 s20, 0xd9c712b6
	s_mov_b32 s21, 0x3fda9628
	v_add_f64 v[122:123], v[46:47], v[122:123]
	v_add_f64 v[78:79], v[46:47], v[78:79]
	;; [unrolled: 1-line block ×4, first 2 shown]
	v_fma_f64 v[179:180], v[128:129], s[2:3], v[142:143]
	v_fma_f64 v[142:143], v[128:129], s[2:3], -v[142:143]
	v_fma_f64 v[183:184], v[134:135], s[2:3], -v[151:152]
	v_fma_f64 v[151:152], v[134:135], s[2:3], v[151:152]
	v_add_f64 v[167:168], v[46:47], v[167:168]
	v_mul_f64 v[159:160], v[96:97], s[22:23]
	v_mul_f64 v[171:172], v[110:111], s[28:29]
	;; [unrolled: 1-line block ×3, first 2 shown]
	v_add_f64 v[88:89], v[100:101], v[88:89]
	v_fma_f64 v[100:101], v[120:121], s[20:21], v[140:141]
	v_fma_f64 v[187:188], v[132:133], s[20:21], -v[147:148]
	v_fma_f64 v[140:141], v[120:121], s[20:21], -v[140:141]
	;; [unrolled: 1-line block ×3, first 2 shown]
	v_fma_f64 v[147:148], v[132:133], s[20:21], v[147:148]
	v_fma_f64 v[165:166], v[104:105], s[0:1], -v[165:166]
	v_fma_f64 v[173:174], v[112:113], s[0:1], v[173:174]
	v_add_f64 v[136:137], v[46:47], v[136:137]
	v_add_f64 v[149:150], v[44:45], v[149:150]
	v_add_f64 v[122:123], v[153:154], v[122:123]
	v_add_f64 v[78:79], v[114:115], v[78:79]
	v_add_f64 v[126:127], v[155:156], v[126:127]
	v_add_f64 v[84:85], v[116:117], v[84:85]
	v_mul_f64 v[114:115], v[66:67], s[30:31]
	v_mul_f64 v[153:154], v[68:69], s[30:31]
	v_fma_f64 v[155:156], v[70:71], s[0:1], v[163:164]
	v_mul_f64 v[116:117], v[110:111], s[24:25]
	v_add_f64 v[102:103], v[124:125], v[102:103]
	v_add_f64 v[167:168], v[185:186], v[167:168]
	;; [unrolled: 1-line block ×3, first 2 shown]
	v_add_f64 v[86:87], v[56:57], -v[94:95]
	v_add_f64 v[106:107], v[58:59], -v[80:81]
	v_mul_f64 v[169:170], v[108:109], s[22:23]
	v_add_f64 v[181:182], v[44:45], v[181:182]
	v_fma_f64 v[189:190], v[134:135], s[6:7], -v[171:172]
	v_fma_f64 v[171:172], v[134:135], s[6:7], v[171:172]
	v_fma_f64 v[163:164], v[70:71], s[0:1], -v[163:164]
	v_add_f64 v[64:65], v[88:89], v[64:65]
	v_fma_f64 v[88:89], v[120:121], s[18:19], -v[159:160]
	v_add_f64 v[136:137], v[165:166], v[136:137]
	v_add_f64 v[149:150], v[173:174], v[149:150]
	;; [unrolled: 1-line block ×6, first 2 shown]
	v_fma_f64 v[142:143], v[104:105], s[18:19], v[114:115]
	v_fma_f64 v[183:184], v[112:113], s[18:19], -v[153:154]
	v_add_f64 v[151:152], v[46:47], v[155:156]
	v_fma_f64 v[155:156], v[128:129], s[6:7], v[161:162]
	v_fma_f64 v[161:162], v[128:129], s[6:7], -v[161:162]
	v_fma_f64 v[173:174], v[134:135], s[20:21], -v[116:117]
	v_add_f64 v[76:77], v[102:103], v[76:77]
	v_mul_f64 v[157:158], v[86:87], s[24:25]
	v_fma_f64 v[114:115], v[104:105], s[18:19], -v[114:115]
	v_fma_f64 v[153:154], v[112:113], s[18:19], v[153:154]
	v_add_f64 v[181:182], v[191:192], v[181:182]
	v_add_f64 v[118:119], v[58:59], v[80:81]
	;; [unrolled: 1-line block ×3, first 2 shown]
	v_fma_f64 v[116:117], v[134:135], s[20:21], v[116:117]
	v_add_f64 v[62:63], v[64:65], v[62:63]
	v_mul_f64 v[64:65], v[92:93], s[28:29]
	v_mul_f64 v[138:139], v[86:87], s[16:17]
	v_add_f64 v[149:150], v[171:172], v[149:150]
	v_add_f64 v[100:101], v[100:101], v[122:123]
	;; [unrolled: 1-line block ×3, first 2 shown]
	v_fma_f64 v[140:141], v[74:75], s[0:1], v[175:176]
	v_add_f64 v[84:85], v[147:148], v[84:85]
	v_fma_f64 v[147:148], v[128:129], s[20:21], v[177:178]
	v_add_f64 v[175:176], v[183:184], v[185:186]
	v_add_f64 v[142:143], v[142:143], v[151:152]
	v_fma_f64 v[151:152], v[120:121], s[18:19], v[159:160]
	v_add_f64 v[155:156], v[155:156], v[167:168]
	v_mul_f64 v[167:168], v[108:109], s[28:29]
	v_add_f64 v[122:123], v[187:188], v[126:127]
	v_mul_f64 v[126:127], v[96:97], s[28:29]
	v_mul_f64 v[183:184], v[106:107], s[24:25]
	s_mov_b32 s25, 0xbfed1bb4
	v_fma_f64 v[185:186], v[132:133], s[18:19], -v[169:170]
	v_add_f64 v[102:103], v[161:162], v[136:137]
	v_fma_f64 v[136:137], v[132:133], s[18:19], v[169:170]
	v_add_f64 v[159:160], v[46:47], v[163:164]
	v_add_f64 v[60:61], v[76:77], v[60:61]
	v_mul_f64 v[76:77], v[92:93], s[24:25]
	v_add_f64 v[181:182], v[189:190], v[181:182]
	v_add_f64 v[58:59], v[62:63], v[58:59]
	v_fma_f64 v[165:166], v[118:119], s[20:21], v[157:158]
	v_fma_f64 v[92:93], v[118:119], s[20:21], -v[157:158]
	v_add_f64 v[140:141], v[44:45], v[140:141]
	v_fma_f64 v[157:158], v[128:129], s[20:21], -v[177:178]
	v_mul_f64 v[145:146], v[106:107], s[16:17]
	v_add_f64 v[171:172], v[173:174], v[175:176]
	v_add_f64 v[142:143], v[147:148], v[142:143]
	v_mul_f64 v[161:162], v[86:87], s[14:15]
	v_add_f64 v[147:148], v[151:152], v[155:156]
	v_mul_f64 v[151:152], v[90:91], s[24:25]
	v_fma_f64 v[169:170], v[132:133], s[6:7], -v[167:168]
	v_mul_f64 v[90:91], v[90:91], s[28:29]
	v_fma_f64 v[163:164], v[120:121], s[6:7], v[126:127]
	v_fma_f64 v[173:174], v[130:131], s[20:21], -v[183:184]
	v_fma_f64 v[126:127], v[120:121], s[6:7], -v[126:127]
	v_add_f64 v[88:89], v[88:89], v[102:103]
	v_fma_f64 v[102:103], v[130:131], s[20:21], v[183:184]
	v_add_f64 v[114:115], v[114:115], v[159:160]
	v_add_f64 v[56:57], v[60:61], v[56:57]
	v_fma_f64 v[60:61], v[74:75], s[6:7], v[64:65]
	v_fma_f64 v[62:63], v[74:75], s[20:21], v[76:77]
	v_fma_f64 v[76:77], v[74:75], s[20:21], -v[76:77]
	v_fma_f64 v[64:65], v[74:75], s[6:7], -v[64:65]
	v_add_f64 v[175:176], v[185:186], v[181:182]
	v_add_f64 v[140:141], v[153:154], v[140:141]
	v_mul_f64 v[153:154], v[66:67], s[14:15]
	v_mul_f64 v[66:67], v[66:67], s[24:25]
	;; [unrolled: 1-line block ×4, first 2 shown]
	v_add_f64 v[58:59], v[58:59], v[80:81]
	v_mul_f64 v[155:156], v[106:107], s[14:15]
	v_fma_f64 v[159:160], v[70:71], s[20:21], -v[151:152]
	v_add_f64 v[169:170], v[169:170], v[171:172]
	v_fma_f64 v[171:172], v[70:71], s[6:7], -v[90:91]
	v_add_f64 v[142:143], v[163:164], v[142:143]
	v_mul_f64 v[163:164], v[68:69], s[14:15]
	v_mul_f64 v[68:69], v[68:69], s[24:25]
	v_fma_f64 v[151:152], v[70:71], s[20:21], v[151:152]
	v_fma_f64 v[70:71], v[70:71], s[6:7], v[90:91]
	v_add_f64 v[114:115], v[157:158], v[114:115]
	v_add_f64 v[56:57], v[56:57], v[94:95]
	;; [unrolled: 1-line block ×3, first 2 shown]
	v_fma_f64 v[157:158], v[132:133], s[6:7], v[167:168]
	v_add_f64 v[62:63], v[44:45], v[62:63]
	v_add_f64 v[76:77], v[44:45], v[76:77]
	;; [unrolled: 1-line block ×4, first 2 shown]
	v_fma_f64 v[140:141], v[104:105], s[2:3], -v[153:154]
	v_fma_f64 v[181:182], v[104:105], s[20:21], -v[66:67]
	v_mul_f64 v[116:117], v[110:111], s[30:31]
	v_mul_f64 v[110:111], v[110:111], s[16:17]
	v_fma_f64 v[80:81], v[104:105], s[2:3], v[153:154]
	v_fma_f64 v[66:67], v[104:105], s[20:21], v[66:67]
	v_add_f64 v[159:160], v[46:47], v[159:160]
	v_mul_f64 v[64:65], v[96:97], s[26:27]
	v_add_f64 v[171:172], v[46:47], v[171:172]
	v_fma_f64 v[104:105], v[128:129], s[18:19], -v[74:75]
	v_fma_f64 v[167:168], v[112:113], s[2:3], v[163:164]
	v_fma_f64 v[183:184], v[112:113], s[20:21], v[68:69]
	v_add_f64 v[94:95], v[46:47], v[151:152]
	v_fma_f64 v[151:152], v[112:113], s[2:3], -v[163:164]
	v_add_f64 v[46:47], v[46:47], v[70:71]
	v_fma_f64 v[68:69], v[112:113], s[20:21], -v[68:69]
	v_mul_f64 v[96:97], v[96:97], s[14:15]
	v_fma_f64 v[153:154], v[128:129], s[0:1], -v[98:99]
	v_add_f64 v[58:59], v[58:59], v[72:73]
	v_add_f64 v[56:57], v[56:57], v[82:83]
	v_mul_f64 v[70:71], v[108:109], s[26:27]
	v_mul_f64 v[108:109], v[108:109], s[14:15]
	v_fma_f64 v[72:73], v[128:129], s[18:19], v[74:75]
	v_fma_f64 v[82:83], v[128:129], s[0:1], v[98:99]
	v_add_f64 v[136:137], v[136:137], v[149:150]
	v_fma_f64 v[163:164], v[134:135], s[0:1], v[110:111]
	v_fma_f64 v[124:125], v[118:119], s[0:1], v[138:139]
	v_fma_f64 v[179:180], v[130:131], s[0:1], -v[145:146]
	v_add_f64 v[112:113], v[140:141], v[159:160]
	v_fma_f64 v[140:141], v[134:135], s[18:19], v[116:117]
	v_add_f64 v[159:160], v[181:182], v[171:172]
	v_fma_f64 v[98:99], v[120:121], s[0:1], -v[64:65]
	v_add_f64 v[62:63], v[167:168], v[62:63]
	v_add_f64 v[60:61], v[183:184], v[60:61]
	;; [unrolled: 1-line block ×3, first 2 shown]
	v_fma_f64 v[80:81], v[134:135], s[18:19], -v[116:117]
	v_add_f64 v[76:77], v[151:152], v[76:77]
	v_add_f64 v[46:47], v[66:67], v[46:47]
	v_fma_f64 v[66:67], v[134:135], s[0:1], -v[110:111]
	v_add_f64 v[44:45], v[68:69], v[44:45]
	v_add_f64 v[50:51], v[58:59], v[50:51]
	;; [unrolled: 1-line block ×3, first 2 shown]
	v_mul_f64 v[68:69], v[86:87], s[12:13]
	v_mul_f64 v[94:95], v[106:107], s[12:13]
	;; [unrolled: 1-line block ×4, first 2 shown]
	v_fma_f64 v[128:129], v[132:133], s[2:3], v[108:109]
	v_fma_f64 v[110:111], v[132:133], s[0:1], v[70:71]
	v_fma_f64 v[138:139], v[118:119], s[0:1], -v[138:139]
	v_fma_f64 v[145:146], v[130:131], s[0:1], v[145:146]
	v_add_f64 v[104:105], v[104:105], v[112:113]
	v_fma_f64 v[112:113], v[120:121], s[2:3], -v[96:97]
	v_add_f64 v[116:117], v[153:154], v[159:160]
	v_fma_f64 v[149:150], v[118:119], s[2:3], v[161:162]
	v_add_f64 v[58:59], v[140:141], v[62:63]
	v_add_f64 v[56:57], v[163:164], v[60:61]
	v_fma_f64 v[60:61], v[120:121], s[0:1], v[64:65]
	v_add_f64 v[62:63], v[72:73], v[74:75]
	v_fma_f64 v[64:65], v[132:133], s[0:1], -v[70:71]
	v_add_f64 v[70:71], v[80:81], v[76:77]
	v_fma_f64 v[72:73], v[120:121], s[2:3], v[96:97]
	v_add_f64 v[46:47], v[82:83], v[46:47]
	v_fma_f64 v[74:75], v[132:133], s[2:3], -v[108:109]
	v_add_f64 v[44:45], v[66:67], v[44:45]
	v_add_f64 v[76:77], v[126:127], v[114:115]
	;; [unrolled: 1-line block ×3, first 2 shown]
	v_fma_f64 v[66:67], v[118:119], s[2:3], -v[161:162]
	v_add_f64 v[82:83], v[157:158], v[90:91]
	v_fma_f64 v[90:91], v[118:119], s[6:7], -v[68:69]
	v_fma_f64 v[80:81], v[130:131], s[2:3], v[155:156]
	v_fma_f64 v[177:178], v[130:131], s[2:3], -v[155:156]
	v_fma_f64 v[120:121], v[118:119], s[6:7], v[68:69]
	v_add_f64 v[96:97], v[98:99], v[104:105]
	v_fma_f64 v[104:105], v[118:119], s[18:19], -v[86:87]
	v_add_f64 v[108:109], v[112:113], v[116:117]
	v_add_f64 v[116:117], v[48:49], v[52:53]
	v_fma_f64 v[112:113], v[130:131], s[18:19], v[106:107]
	v_add_f64 v[56:57], v[128:129], v[56:57]
	v_fma_f64 v[98:99], v[130:131], s[6:7], v[94:95]
	v_add_f64 v[110:111], v[110:111], v[58:59]
	v_add_f64 v[126:127], v[60:61], v[62:63]
	v_fma_f64 v[94:95], v[130:131], s[6:7], -v[94:95]
	v_add_f64 v[128:129], v[64:65], v[70:71]
	v_fma_f64 v[86:87], v[118:119], s[18:19], v[86:87]
	v_add_f64 v[118:119], v[72:73], v[46:47]
	v_fma_f64 v[106:107], v[130:131], s[18:19], -v[106:107]
	v_add_f64 v[130:131], v[74:75], v[44:45]
	v_add_f64 v[74:75], v[114:115], v[40:41]
	;; [unrolled: 1-line block ×23, first 2 shown]
	v_lshl_add_u32 v84, v218, 4, v213
	ds_write_b128 v212, v[72:75]
	ds_write_b128 v84, v[68:71] offset:320
	ds_write_b128 v84, v[64:67] offset:640
	;; [unrolled: 1-line block ×10, first 2 shown]
.LBB0_9:
	s_or_b32 exec_lo, exec_lo, s33
	s_waitcnt lgkmcnt(0)
	s_barrier
	buffer_gl0_inv
	ds_read_b128 v[40:43], v212
	ds_read_b128 v[44:47], v212 offset:352
	ds_read_b128 v[48:51], v212 offset:704
	;; [unrolled: 1-line block ×3, first 2 shown]
	v_mad_u64_u32 v[80:81], null, s10, v144, 0
	v_mad_u64_u32 v[82:83], null, s8, v218, 0
	ds_read_b128 v[56:59], v212 offset:1408
	ds_read_b128 v[60:63], v212 offset:1760
	;; [unrolled: 1-line block ×6, first 2 shown]
	s_mov_b32 s0, 0x29e4129e
	s_mov_b32 s1, 0x3f729e41
	s_mul_i32 s3, s9, 0x160
	s_mul_hi_u32 s6, s8, 0x160
	s_mul_i32 s2, s8, 0x160
	v_mad_u64_u32 v[88:89], null, s11, v144, v[81:82]
	s_add_i32 s6, s6, s3
	s_waitcnt lgkmcnt(9)
	v_mul_f64 v[84:85], v[232:233], v[42:43]
	v_mul_f64 v[2:3], v[232:233], v[40:41]
	s_waitcnt lgkmcnt(8)
	v_mul_f64 v[86:87], v[236:237], v[46:47]
	v_mul_f64 v[6:7], v[236:237], v[44:45]
	s_waitcnt lgkmcnt(7)
	v_mul_f64 v[10:11], v[240:241], v[48:49]
	s_waitcnt lgkmcnt(6)
	v_mul_f64 v[14:15], v[244:245], v[52:53]
	v_mul_f64 v[92:93], v[244:245], v[54:55]
	v_mov_b32_e32 v81, v88
	s_waitcnt lgkmcnt(5)
	v_mul_f64 v[18:19], v[248:249], v[56:57]
	s_waitcnt lgkmcnt(4)
	v_mul_f64 v[22:23], v[252:253], v[60:61]
	;; [unrolled: 2-line block ×3, first 2 shown]
	v_mul_f64 v[38:39], v[38:39], v[76:77]
	v_lshlrev_b64 v[80:81], 4, v[80:81]
	v_add_co_u32 v8, vcc_lo, s4, v80
	v_add_co_ci_u32_e32 v9, vcc_lo, s5, v81, vcc_lo
	v_fma_f64 v[40:41], v[230:231], v[40:41], v[84:85]
	v_fma_f64 v[2:3], v[230:231], v[42:43], -v[2:3]
	v_fma_f64 v[42:43], v[234:235], v[44:45], v[86:87]
	v_fma_f64 v[6:7], v[234:235], v[46:47], -v[6:7]
	v_mad_u64_u32 v[89:90], null, s9, v218, v[83:84]
	v_mul_f64 v[90:91], v[240:241], v[50:51]
	v_mul_f64 v[44:45], v[248:249], v[58:59]
	;; [unrolled: 1-line block ×6, first 2 shown]
	v_mov_b32_e32 v83, v89
	v_mul_f64 v[30:31], v[30:31], v[68:69]
	v_mul_f64 v[88:89], v[34:35], v[74:75]
	;; [unrolled: 1-line block ×3, first 2 shown]
	v_fma_f64 v[10:11], v[238:239], v[50:51], -v[10:11]
	v_lshlrev_b64 v[82:83], 4, v[82:83]
	v_fma_f64 v[12:13], v[242:243], v[54:55], -v[14:15]
	v_fma_f64 v[16:17], v[246:247], v[58:59], -v[18:19]
	v_fma_f64 v[18:19], v[250:251], v[62:63], -v[22:23]
	v_mul_f64 v[0:1], v[40:41], s[0:1]
	v_mul_f64 v[2:3], v[2:3], s[0:1]
	;; [unrolled: 1-line block ×4, first 2 shown]
	v_add_co_u32 v14, vcc_lo, v8, v82
	v_fma_f64 v[48:49], v[238:239], v[48:49], v[90:91]
	v_add_co_ci_u32_e32 v15, vcc_lo, v9, v83, vcc_lo
	v_fma_f64 v[40:41], v[242:243], v[52:53], v[92:93]
	v_add_co_u32 v42, vcc_lo, v14, s2
	v_add_co_ci_u32_e32 v43, vcc_lo, s6, v15, vcc_lo
	v_fma_f64 v[44:45], v[246:247], v[56:57], v[44:45]
	v_fma_f64 v[20:21], v[24:25], v[64:65], v[84:85]
	v_fma_f64 v[22:23], v[24:25], v[66:67], -v[26:27]
	v_fma_f64 v[24:25], v[28:29], v[68:69], v[86:87]
	v_fma_f64 v[26:27], v[28:29], v[70:71], -v[30:31]
	global_store_dwordx4 v[14:15], v[0:3], off
	global_store_dwordx4 v[42:43], v[4:7], off
	v_fma_f64 v[14:15], v[250:251], v[60:61], v[46:47]
	v_fma_f64 v[28:29], v[32:33], v[72:73], v[88:89]
	v_fma_f64 v[30:31], v[32:33], v[74:75], -v[34:35]
	v_fma_f64 v[32:33], v[36:37], v[76:77], v[94:95]
	v_fma_f64 v[34:35], v[36:37], v[78:79], -v[38:39]
	v_add_co_u32 v50, vcc_lo, v42, s2
	v_add_co_ci_u32_e32 v51, vcc_lo, s6, v43, vcc_lo
	v_mul_f64 v[8:9], v[48:49], s[0:1]
	v_mul_f64 v[10:11], v[10:11], s[0:1]
	v_add_co_u32 v36, vcc_lo, v50, s2
	v_add_co_ci_u32_e32 v37, vcc_lo, s6, v51, vcc_lo
	v_mul_f64 v[0:1], v[40:41], s[0:1]
	v_mul_f64 v[2:3], v[12:13], s[0:1]
	v_add_co_u32 v38, vcc_lo, v36, s2
	v_add_co_ci_u32_e32 v39, vcc_lo, s6, v37, vcc_lo
	v_mul_f64 v[4:5], v[44:45], s[0:1]
	v_add_co_u32 v40, vcc_lo, v38, s2
	v_mul_f64 v[6:7], v[16:17], s[0:1]
	v_mul_f64 v[12:13], v[14:15], s[0:1]
	;; [unrolled: 1-line block ×3, first 2 shown]
	v_add_co_ci_u32_e32 v41, vcc_lo, s6, v39, vcc_lo
	v_mul_f64 v[16:17], v[20:21], s[0:1]
	v_mul_f64 v[18:19], v[22:23], s[0:1]
	;; [unrolled: 1-line block ×8, first 2 shown]
	v_add_co_u32 v32, vcc_lo, v40, s2
	v_add_co_ci_u32_e32 v33, vcc_lo, s6, v41, vcc_lo
	global_store_dwordx4 v[50:51], v[8:11], off
	v_add_co_u32 v8, vcc_lo, v32, s2
	v_add_co_ci_u32_e32 v9, vcc_lo, s6, v33, vcc_lo
	global_store_dwordx4 v[36:37], v[0:3], off
	;; [unrolled: 3-line block ×4, first 2 shown]
	global_store_dwordx4 v[32:33], v[16:19], off
	global_store_dwordx4 v[8:9], v[20:23], off
	global_store_dwordx4 v[0:1], v[24:27], off
	global_store_dwordx4 v[2:3], v[28:31], off
.LBB0_10:
	s_endpgm
	.section	.rodata,"a",@progbits
	.p2align	6, 0x0
	.amdhsa_kernel bluestein_single_fwd_len220_dim1_dp_op_CI_CI
		.amdhsa_group_segment_fixed_size 17600
		.amdhsa_private_segment_fixed_size 20
		.amdhsa_kernarg_size 104
		.amdhsa_user_sgpr_count 6
		.amdhsa_user_sgpr_private_segment_buffer 1
		.amdhsa_user_sgpr_dispatch_ptr 0
		.amdhsa_user_sgpr_queue_ptr 0
		.amdhsa_user_sgpr_kernarg_segment_ptr 1
		.amdhsa_user_sgpr_dispatch_id 0
		.amdhsa_user_sgpr_flat_scratch_init 0
		.amdhsa_user_sgpr_private_segment_size 0
		.amdhsa_wavefront_size32 1
		.amdhsa_uses_dynamic_stack 0
		.amdhsa_system_sgpr_private_segment_wavefront_offset 1
		.amdhsa_system_sgpr_workgroup_id_x 1
		.amdhsa_system_sgpr_workgroup_id_y 0
		.amdhsa_system_sgpr_workgroup_id_z 0
		.amdhsa_system_sgpr_workgroup_info 0
		.amdhsa_system_vgpr_workitem_id 0
		.amdhsa_next_free_vgpr 256
		.amdhsa_next_free_sgpr 44
		.amdhsa_reserve_vcc 1
		.amdhsa_reserve_flat_scratch 0
		.amdhsa_float_round_mode_32 0
		.amdhsa_float_round_mode_16_64 0
		.amdhsa_float_denorm_mode_32 3
		.amdhsa_float_denorm_mode_16_64 3
		.amdhsa_dx10_clamp 1
		.amdhsa_ieee_mode 1
		.amdhsa_fp16_overflow 0
		.amdhsa_workgroup_processor_mode 1
		.amdhsa_memory_ordered 1
		.amdhsa_forward_progress 0
		.amdhsa_shared_vgpr_count 0
		.amdhsa_exception_fp_ieee_invalid_op 0
		.amdhsa_exception_fp_denorm_src 0
		.amdhsa_exception_fp_ieee_div_zero 0
		.amdhsa_exception_fp_ieee_overflow 0
		.amdhsa_exception_fp_ieee_underflow 0
		.amdhsa_exception_fp_ieee_inexact 0
		.amdhsa_exception_int_div_zero 0
	.end_amdhsa_kernel
	.text
.Lfunc_end0:
	.size	bluestein_single_fwd_len220_dim1_dp_op_CI_CI, .Lfunc_end0-bluestein_single_fwd_len220_dim1_dp_op_CI_CI
                                        ; -- End function
	.section	.AMDGPU.csdata,"",@progbits
; Kernel info:
; codeLenInByte = 13868
; NumSgprs: 46
; NumVgprs: 256
; ScratchSize: 20
; MemoryBound: 0
; FloatMode: 240
; IeeeMode: 1
; LDSByteSize: 17600 bytes/workgroup (compile time only)
; SGPRBlocks: 5
; VGPRBlocks: 31
; NumSGPRsForWavesPerEU: 46
; NumVGPRsForWavesPerEU: 256
; Occupancy: 4
; WaveLimiterHint : 1
; COMPUTE_PGM_RSRC2:SCRATCH_EN: 1
; COMPUTE_PGM_RSRC2:USER_SGPR: 6
; COMPUTE_PGM_RSRC2:TRAP_HANDLER: 0
; COMPUTE_PGM_RSRC2:TGID_X_EN: 1
; COMPUTE_PGM_RSRC2:TGID_Y_EN: 0
; COMPUTE_PGM_RSRC2:TGID_Z_EN: 0
; COMPUTE_PGM_RSRC2:TIDIG_COMP_CNT: 0
	.text
	.p2alignl 6, 3214868480
	.fill 48, 4, 3214868480
	.type	__hip_cuid_6a6de097875aa62d,@object ; @__hip_cuid_6a6de097875aa62d
	.section	.bss,"aw",@nobits
	.globl	__hip_cuid_6a6de097875aa62d
__hip_cuid_6a6de097875aa62d:
	.byte	0                               ; 0x0
	.size	__hip_cuid_6a6de097875aa62d, 1

	.ident	"AMD clang version 19.0.0git (https://github.com/RadeonOpenCompute/llvm-project roc-6.4.0 25133 c7fe45cf4b819c5991fe208aaa96edf142730f1d)"
	.section	".note.GNU-stack","",@progbits
	.addrsig
	.addrsig_sym __hip_cuid_6a6de097875aa62d
	.amdgpu_metadata
---
amdhsa.kernels:
  - .args:
      - .actual_access:  read_only
        .address_space:  global
        .offset:         0
        .size:           8
        .value_kind:     global_buffer
      - .actual_access:  read_only
        .address_space:  global
        .offset:         8
        .size:           8
        .value_kind:     global_buffer
      - .actual_access:  read_only
        .address_space:  global
        .offset:         16
        .size:           8
        .value_kind:     global_buffer
      - .actual_access:  read_only
        .address_space:  global
        .offset:         24
        .size:           8
        .value_kind:     global_buffer
      - .actual_access:  read_only
        .address_space:  global
        .offset:         32
        .size:           8
        .value_kind:     global_buffer
      - .offset:         40
        .size:           8
        .value_kind:     by_value
      - .address_space:  global
        .offset:         48
        .size:           8
        .value_kind:     global_buffer
      - .address_space:  global
        .offset:         56
        .size:           8
        .value_kind:     global_buffer
      - .address_space:  global
        .offset:         64
        .size:           8
        .value_kind:     global_buffer
      - .address_space:  global
        .offset:         72
        .size:           8
        .value_kind:     global_buffer
      - .offset:         80
        .size:           4
        .value_kind:     by_value
      - .address_space:  global
        .offset:         88
        .size:           8
        .value_kind:     global_buffer
      - .address_space:  global
        .offset:         96
        .size:           8
        .value_kind:     global_buffer
    .group_segment_fixed_size: 17600
    .kernarg_segment_align: 8
    .kernarg_segment_size: 104
    .language:       OpenCL C
    .language_version:
      - 2
      - 0
    .max_flat_workgroup_size: 110
    .name:           bluestein_single_fwd_len220_dim1_dp_op_CI_CI
    .private_segment_fixed_size: 20
    .sgpr_count:     46
    .sgpr_spill_count: 0
    .symbol:         bluestein_single_fwd_len220_dim1_dp_op_CI_CI.kd
    .uniform_work_group_size: 1
    .uses_dynamic_stack: false
    .vgpr_count:     256
    .vgpr_spill_count: 4
    .wavefront_size: 32
    .workgroup_processor_mode: 1
amdhsa.target:   amdgcn-amd-amdhsa--gfx1030
amdhsa.version:
  - 1
  - 2
...

	.end_amdgpu_metadata
